;; amdgpu-corpus repo=ROCm/rocSPARSE kind=compiled arch=gfx1100 opt=O3
	.text
	.amdgcn_target "amdgcn-amd-amdhsa--gfx1100"
	.amdhsa_code_object_version 6
	.section	.text._ZN9rocsparseL30copy_indexbase_iarray_mix_safeILj1024EiiEEvmPT0_21rocsparse_index_base_PKT1_S3_Pm,"axG",@progbits,_ZN9rocsparseL30copy_indexbase_iarray_mix_safeILj1024EiiEEvmPT0_21rocsparse_index_base_PKT1_S3_Pm,comdat
	.globl	_ZN9rocsparseL30copy_indexbase_iarray_mix_safeILj1024EiiEEvmPT0_21rocsparse_index_base_PKT1_S3_Pm ; -- Begin function _ZN9rocsparseL30copy_indexbase_iarray_mix_safeILj1024EiiEEvmPT0_21rocsparse_index_base_PKT1_S3_Pm
	.p2align	8
	.type	_ZN9rocsparseL30copy_indexbase_iarray_mix_safeILj1024EiiEEvmPT0_21rocsparse_index_base_PKT1_S3_Pm,@function
_ZN9rocsparseL30copy_indexbase_iarray_mix_safeILj1024EiiEEvmPT0_21rocsparse_index_base_PKT1_S3_Pm: ; @_ZN9rocsparseL30copy_indexbase_iarray_mix_safeILj1024EiiEEvmPT0_21rocsparse_index_base_PKT1_S3_Pm
; %bb.0:
	s_load_b128 s[4:7], s[0:1], 0x0
	v_lshl_or_b32 v1, s15, 10, v0
	v_mov_b32_e32 v2, 0
	s_mov_b32 s2, exec_lo
	s_waitcnt lgkmcnt(0)
	s_delay_alu instid0(VALU_DEP_1)
	v_cmpx_gt_u64_e64 s[4:5], v[1:2]
	s_cbranch_execz .LBB0_2
; %bb.1:
	s_load_b64 s[4:5], s[0:1], 0x18
	v_lshlrev_b64 v[3:4], 2, v[1:2]
	s_load_b32 s3, s[0:1], 0x20
	s_waitcnt lgkmcnt(0)
	s_delay_alu instid0(VALU_DEP_1) | instskip(SKIP_1) | instid1(VALU_DEP_2)
	v_add_co_u32 v5, vcc_lo, s4, v3
	s_load_b32 s4, s[0:1], 0x10
	v_add_co_ci_u32_e32 v6, vcc_lo, s5, v4, vcc_lo
	v_add_co_u32 v3, vcc_lo, s6, v3
	v_add_co_ci_u32_e32 v4, vcc_lo, s7, v4, vcc_lo
	global_load_b32 v1, v[5:6], off
	s_waitcnt lgkmcnt(0)
	s_sub_i32 s3, s4, s3
	s_waitcnt vmcnt(0)
	v_add_nc_u32_e32 v1, s3, v1
	global_store_b32 v[3:4], v1, off
.LBB0_2:
	s_or_b32 exec_lo, exec_lo, s2
	v_lshlrev_b32_e32 v3, 3, v0
	v_mov_b32_e32 v1, v2
	s_mov_b32 s2, exec_lo
	ds_store_b64 v3, v[1:2]
	s_waitcnt lgkmcnt(0)
	s_waitcnt_vscnt null, 0x0
	s_barrier
	buffer_gl0_inv
	v_cmpx_gt_u32_e32 0x200, v0
	s_cbranch_execz .LBB0_4
; %bb.3:
	ds_load_2addr_stride64_b64 v[4:7], v3 offset1:8
	s_waitcnt lgkmcnt(0)
	v_add_co_u32 v1, vcc_lo, v6, v4
	v_add_co_ci_u32_e32 v2, vcc_lo, v7, v5, vcc_lo
	ds_store_b64 v3, v[1:2]
.LBB0_4:
	s_or_b32 exec_lo, exec_lo, s2
	s_delay_alu instid0(SALU_CYCLE_1)
	s_mov_b32 s2, exec_lo
	s_waitcnt lgkmcnt(0)
	s_barrier
	buffer_gl0_inv
	v_cmpx_gt_u32_e32 0x100, v0
	s_cbranch_execz .LBB0_6
; %bb.5:
	ds_load_2addr_stride64_b64 v[4:7], v3 offset1:4
	s_waitcnt lgkmcnt(0)
	v_add_co_u32 v1, vcc_lo, v6, v4
	v_add_co_ci_u32_e32 v2, vcc_lo, v7, v5, vcc_lo
	ds_store_b64 v3, v[1:2]
.LBB0_6:
	s_or_b32 exec_lo, exec_lo, s2
	s_delay_alu instid0(SALU_CYCLE_1)
	s_mov_b32 s2, exec_lo
	s_waitcnt lgkmcnt(0)
	;; [unrolled: 15-line block ×4, first 2 shown]
	s_barrier
	buffer_gl0_inv
	v_cmpx_gt_u32_e32 32, v0
	s_cbranch_execz .LBB0_12
; %bb.11:
	ds_load_2addr_b64 v[4:7], v3 offset1:32
	s_waitcnt lgkmcnt(0)
	v_add_co_u32 v1, vcc_lo, v6, v4
	v_add_co_ci_u32_e32 v2, vcc_lo, v7, v5, vcc_lo
	ds_store_b64 v3, v[1:2]
.LBB0_12:
	s_or_b32 exec_lo, exec_lo, s2
	s_delay_alu instid0(SALU_CYCLE_1)
	s_mov_b32 s2, exec_lo
	s_waitcnt lgkmcnt(0)
	s_barrier
	buffer_gl0_inv
	v_cmpx_gt_u32_e32 16, v0
	s_cbranch_execz .LBB0_14
; %bb.13:
	ds_load_2addr_b64 v[4:7], v3 offset1:16
	s_waitcnt lgkmcnt(0)
	v_add_co_u32 v1, vcc_lo, v6, v4
	v_add_co_ci_u32_e32 v2, vcc_lo, v7, v5, vcc_lo
	ds_store_b64 v3, v[1:2]
.LBB0_14:
	s_or_b32 exec_lo, exec_lo, s2
	s_delay_alu instid0(SALU_CYCLE_1)
	s_mov_b32 s2, exec_lo
	s_waitcnt lgkmcnt(0)
	;; [unrolled: 15-line block ×4, first 2 shown]
	s_barrier
	buffer_gl0_inv
	v_cmpx_gt_u32_e32 2, v0
	s_cbranch_execz .LBB0_20
; %bb.19:
	ds_load_2addr_b64 v[4:7], v3 offset1:2
	s_waitcnt lgkmcnt(0)
	v_add_co_u32 v1, vcc_lo, v6, v4
	v_add_co_ci_u32_e32 v2, vcc_lo, v7, v5, vcc_lo
	ds_store_b64 v3, v[1:2]
.LBB0_20:
	s_or_b32 exec_lo, exec_lo, s2
	v_cmp_eq_u32_e32 vcc_lo, 0, v0
	s_waitcnt lgkmcnt(0)
	s_barrier
	buffer_gl0_inv
	s_and_saveexec_b32 s3, vcc_lo
	s_cbranch_execz .LBB0_22
; %bb.21:
	v_mov_b32_e32 v4, 0
	ds_load_b128 v[0:3], v4
	s_waitcnt lgkmcnt(0)
	v_add_co_u32 v0, s2, v2, v0
	s_delay_alu instid0(VALU_DEP_1)
	v_add_co_ci_u32_e64 v1, s2, v3, v1, s2
	ds_store_b64 v4, v[0:1]
.LBB0_22:
	s_or_b32 exec_lo, exec_lo, s3
	s_waitcnt lgkmcnt(0)
	s_barrier
	buffer_gl0_inv
	s_and_saveexec_b32 s2, vcc_lo
	s_cbranch_execz .LBB0_26
; %bb.23:
	v_mov_b32_e32 v4, 0
	s_mov_b32 s3, exec_lo
	s_mov_b32 s2, exec_lo
	v_mbcnt_lo_u32_b32 v5, s3, 0
                                        ; implicit-def: $vgpr2_vgpr3
	ds_load_b64 v[0:1], v4
	v_cmpx_eq_u32_e32 0, v5
	s_cbranch_execz .LBB0_25
; %bb.24:
	s_load_b64 s[0:1], s[0:1], 0x28
	s_bcnt1_i32_b32 s3, s3
	s_waitcnt lgkmcnt(0)
	v_mul_lo_u32 v3, v1, s3
	v_mul_hi_u32 v6, v0, s3
	v_mul_lo_u32 v2, v0, s3
	s_delay_alu instid0(VALU_DEP_2)
	v_add_nc_u32_e32 v3, v6, v3
	global_atomic_add_u64 v[2:3], v4, v[2:3], s[0:1] glc
.LBB0_25:
	s_or_b32 exec_lo, exec_lo, s2
	s_waitcnt vmcnt(0)
	v_readfirstlane_b32 s1, v3
	v_readfirstlane_b32 s0, v2
	s_waitcnt lgkmcnt(0)
	s_delay_alu instid0(VALU_DEP_1) | instskip(NEXT) | instid1(VALU_DEP_1)
	v_mad_u64_u32 v[2:3], null, v0, v5, s[0:1]
	v_mov_b32_e32 v0, v3
	s_delay_alu instid0(VALU_DEP_1) | instskip(NEXT) | instid1(VALU_DEP_1)
	v_mad_u64_u32 v[6:7], null, v1, v5, v[0:1]
	v_mov_b32_e32 v3, v6
	ds_store_b64 v4, v[2:3]
.LBB0_26:
	s_endpgm
	.section	.rodata,"a",@progbits
	.p2align	6, 0x0
	.amdhsa_kernel _ZN9rocsparseL30copy_indexbase_iarray_mix_safeILj1024EiiEEvmPT0_21rocsparse_index_base_PKT1_S3_Pm
		.amdhsa_group_segment_fixed_size 8192
		.amdhsa_private_segment_fixed_size 0
		.amdhsa_kernarg_size 48
		.amdhsa_user_sgpr_count 15
		.amdhsa_user_sgpr_dispatch_ptr 0
		.amdhsa_user_sgpr_queue_ptr 0
		.amdhsa_user_sgpr_kernarg_segment_ptr 1
		.amdhsa_user_sgpr_dispatch_id 0
		.amdhsa_user_sgpr_private_segment_size 0
		.amdhsa_wavefront_size32 1
		.amdhsa_uses_dynamic_stack 0
		.amdhsa_enable_private_segment 0
		.amdhsa_system_sgpr_workgroup_id_x 1
		.amdhsa_system_sgpr_workgroup_id_y 0
		.amdhsa_system_sgpr_workgroup_id_z 0
		.amdhsa_system_sgpr_workgroup_info 0
		.amdhsa_system_vgpr_workitem_id 0
		.amdhsa_next_free_vgpr 8
		.amdhsa_next_free_sgpr 16
		.amdhsa_reserve_vcc 1
		.amdhsa_float_round_mode_32 0
		.amdhsa_float_round_mode_16_64 0
		.amdhsa_float_denorm_mode_32 3
		.amdhsa_float_denorm_mode_16_64 3
		.amdhsa_dx10_clamp 1
		.amdhsa_ieee_mode 1
		.amdhsa_fp16_overflow 0
		.amdhsa_workgroup_processor_mode 1
		.amdhsa_memory_ordered 1
		.amdhsa_forward_progress 0
		.amdhsa_shared_vgpr_count 0
		.amdhsa_exception_fp_ieee_invalid_op 0
		.amdhsa_exception_fp_denorm_src 0
		.amdhsa_exception_fp_ieee_div_zero 0
		.amdhsa_exception_fp_ieee_overflow 0
		.amdhsa_exception_fp_ieee_underflow 0
		.amdhsa_exception_fp_ieee_inexact 0
		.amdhsa_exception_int_div_zero 0
	.end_amdhsa_kernel
	.section	.text._ZN9rocsparseL30copy_indexbase_iarray_mix_safeILj1024EiiEEvmPT0_21rocsparse_index_base_PKT1_S3_Pm,"axG",@progbits,_ZN9rocsparseL30copy_indexbase_iarray_mix_safeILj1024EiiEEvmPT0_21rocsparse_index_base_PKT1_S3_Pm,comdat
.Lfunc_end0:
	.size	_ZN9rocsparseL30copy_indexbase_iarray_mix_safeILj1024EiiEEvmPT0_21rocsparse_index_base_PKT1_S3_Pm, .Lfunc_end0-_ZN9rocsparseL30copy_indexbase_iarray_mix_safeILj1024EiiEEvmPT0_21rocsparse_index_base_PKT1_S3_Pm
                                        ; -- End function
	.section	.AMDGPU.csdata,"",@progbits
; Kernel info:
; codeLenInByte = 1040
; NumSgprs: 18
; NumVgprs: 8
; ScratchSize: 0
; MemoryBound: 0
; FloatMode: 240
; IeeeMode: 1
; LDSByteSize: 8192 bytes/workgroup (compile time only)
; SGPRBlocks: 2
; VGPRBlocks: 0
; NumSGPRsForWavesPerEU: 18
; NumVGPRsForWavesPerEU: 8
; Occupancy: 16
; WaveLimiterHint : 0
; COMPUTE_PGM_RSRC2:SCRATCH_EN: 0
; COMPUTE_PGM_RSRC2:USER_SGPR: 15
; COMPUTE_PGM_RSRC2:TRAP_HANDLER: 0
; COMPUTE_PGM_RSRC2:TGID_X_EN: 1
; COMPUTE_PGM_RSRC2:TGID_Y_EN: 0
; COMPUTE_PGM_RSRC2:TGID_Z_EN: 0
; COMPUTE_PGM_RSRC2:TIDIG_COMP_CNT: 0
	.section	.text._ZN9rocsparseL30copy_indexbase_iarray_mix_safeILj1024EilEEvmPT0_21rocsparse_index_base_PKT1_S3_Pm,"axG",@progbits,_ZN9rocsparseL30copy_indexbase_iarray_mix_safeILj1024EilEEvmPT0_21rocsparse_index_base_PKT1_S3_Pm,comdat
	.globl	_ZN9rocsparseL30copy_indexbase_iarray_mix_safeILj1024EilEEvmPT0_21rocsparse_index_base_PKT1_S3_Pm ; -- Begin function _ZN9rocsparseL30copy_indexbase_iarray_mix_safeILj1024EilEEvmPT0_21rocsparse_index_base_PKT1_S3_Pm
	.p2align	8
	.type	_ZN9rocsparseL30copy_indexbase_iarray_mix_safeILj1024EilEEvmPT0_21rocsparse_index_base_PKT1_S3_Pm,@function
_ZN9rocsparseL30copy_indexbase_iarray_mix_safeILj1024EilEEvmPT0_21rocsparse_index_base_PKT1_S3_Pm: ; @_ZN9rocsparseL30copy_indexbase_iarray_mix_safeILj1024EilEEvmPT0_21rocsparse_index_base_PKT1_S3_Pm
; %bb.0:
	s_load_b128 s[4:7], s[0:1], 0x0
	v_dual_mov_b32 v2, 0 :: v_dual_mov_b32 v3, 0
	v_lshl_or_b32 v1, s15, 10, v0
	v_mov_b32_e32 v4, 0
	s_mov_b32 s2, exec_lo
	s_waitcnt lgkmcnt(0)
	s_delay_alu instid0(VALU_DEP_2)
	v_cmpx_gt_u64_e64 s[4:5], v[1:2]
	s_cbranch_execz .LBB1_4
; %bb.1:
	s_load_b64 s[4:5], s[0:1], 0x18
	v_lshlrev_b64 v[3:4], 3, v[1:2]
	s_waitcnt lgkmcnt(0)
	s_delay_alu instid0(VALU_DEP_1) | instskip(NEXT) | instid1(VALU_DEP_2)
	v_add_co_u32 v3, vcc_lo, s4, v3
	v_add_co_ci_u32_e32 v4, vcc_lo, s5, v4, vcc_lo
	s_mov_b32 s4, -1
	s_mov_b32 s5, -2
	global_load_b64 v[5:6], v[3:4], off
	s_waitcnt vmcnt(0)
	v_add_co_u32 v3, vcc_lo, 0x80000000, v5
	v_add_co_ci_u32_e32 v4, vcc_lo, -1, v6, vcc_lo
	s_delay_alu instid0(VALU_DEP_1)
	v_cmp_lt_u64_e32 vcc_lo, s[4:5], v[3:4]
	v_mov_b32_e32 v3, 1
	v_mov_b32_e32 v4, 0
	s_and_saveexec_b32 s3, vcc_lo
	s_cbranch_execz .LBB1_3
; %bb.2:
	s_clause 0x1
	s_load_b32 s4, s[0:1], 0x10
	s_load_b32 s5, s[0:1], 0x20
	v_lshlrev_b64 v[1:2], 2, v[1:2]
	v_mov_b32_e32 v3, 0
	v_mov_b32_e32 v4, 0
	s_delay_alu instid0(VALU_DEP_3) | instskip(NEXT) | instid1(VALU_DEP_4)
	v_add_co_u32 v1, vcc_lo, s6, v1
	v_add_co_ci_u32_e32 v2, vcc_lo, s7, v2, vcc_lo
	s_waitcnt lgkmcnt(0)
	s_sub_i32 s4, s4, s5
	s_delay_alu instid0(SALU_CYCLE_1)
	v_add_nc_u32_e32 v5, s4, v5
	global_store_b32 v[1:2], v5, off
.LBB1_3:
	s_or_b32 exec_lo, exec_lo, s3
.LBB1_4:
	s_delay_alu instid0(SALU_CYCLE_1)
	s_or_b32 exec_lo, exec_lo, s2
	v_lshlrev_b32_e32 v1, 3, v0
	s_mov_b32 s2, exec_lo
	ds_store_b64 v1, v[3:4]
	s_waitcnt lgkmcnt(0)
	s_waitcnt_vscnt null, 0x0
	s_barrier
	buffer_gl0_inv
	v_cmpx_gt_u32_e32 0x200, v0
	s_cbranch_execz .LBB1_6
; %bb.5:
	ds_load_2addr_stride64_b64 v[2:5], v1 offset1:8
	s_waitcnt lgkmcnt(0)
	v_add_co_u32 v2, vcc_lo, v4, v2
	v_add_co_ci_u32_e32 v3, vcc_lo, v5, v3, vcc_lo
	ds_store_b64 v1, v[2:3]
.LBB1_6:
	s_or_b32 exec_lo, exec_lo, s2
	s_delay_alu instid0(SALU_CYCLE_1)
	s_mov_b32 s2, exec_lo
	s_waitcnt lgkmcnt(0)
	s_barrier
	buffer_gl0_inv
	v_cmpx_gt_u32_e32 0x100, v0
	s_cbranch_execz .LBB1_8
; %bb.7:
	ds_load_2addr_stride64_b64 v[2:5], v1 offset1:4
	s_waitcnt lgkmcnt(0)
	v_add_co_u32 v2, vcc_lo, v4, v2
	v_add_co_ci_u32_e32 v3, vcc_lo, v5, v3, vcc_lo
	ds_store_b64 v1, v[2:3]
.LBB1_8:
	s_or_b32 exec_lo, exec_lo, s2
	s_delay_alu instid0(SALU_CYCLE_1)
	s_mov_b32 s2, exec_lo
	s_waitcnt lgkmcnt(0)
	;; [unrolled: 15-line block ×4, first 2 shown]
	s_barrier
	buffer_gl0_inv
	v_cmpx_gt_u32_e32 32, v0
	s_cbranch_execz .LBB1_14
; %bb.13:
	ds_load_2addr_b64 v[2:5], v1 offset1:32
	s_waitcnt lgkmcnt(0)
	v_add_co_u32 v2, vcc_lo, v4, v2
	v_add_co_ci_u32_e32 v3, vcc_lo, v5, v3, vcc_lo
	ds_store_b64 v1, v[2:3]
.LBB1_14:
	s_or_b32 exec_lo, exec_lo, s2
	s_delay_alu instid0(SALU_CYCLE_1)
	s_mov_b32 s2, exec_lo
	s_waitcnt lgkmcnt(0)
	s_barrier
	buffer_gl0_inv
	v_cmpx_gt_u32_e32 16, v0
	s_cbranch_execz .LBB1_16
; %bb.15:
	ds_load_2addr_b64 v[2:5], v1 offset1:16
	s_waitcnt lgkmcnt(0)
	v_add_co_u32 v2, vcc_lo, v4, v2
	v_add_co_ci_u32_e32 v3, vcc_lo, v5, v3, vcc_lo
	ds_store_b64 v1, v[2:3]
.LBB1_16:
	s_or_b32 exec_lo, exec_lo, s2
	s_delay_alu instid0(SALU_CYCLE_1)
	s_mov_b32 s2, exec_lo
	s_waitcnt lgkmcnt(0)
	;; [unrolled: 15-line block ×4, first 2 shown]
	s_barrier
	buffer_gl0_inv
	v_cmpx_gt_u32_e32 2, v0
	s_cbranch_execz .LBB1_22
; %bb.21:
	ds_load_2addr_b64 v[2:5], v1 offset1:2
	s_waitcnt lgkmcnt(0)
	v_add_co_u32 v2, vcc_lo, v4, v2
	v_add_co_ci_u32_e32 v3, vcc_lo, v5, v3, vcc_lo
	ds_store_b64 v1, v[2:3]
.LBB1_22:
	s_or_b32 exec_lo, exec_lo, s2
	v_cmp_eq_u32_e32 vcc_lo, 0, v0
	s_waitcnt lgkmcnt(0)
	s_barrier
	buffer_gl0_inv
	s_and_saveexec_b32 s3, vcc_lo
	s_cbranch_execz .LBB1_24
; %bb.23:
	v_mov_b32_e32 v4, 0
	ds_load_b128 v[0:3], v4
	s_waitcnt lgkmcnt(0)
	v_add_co_u32 v0, s2, v2, v0
	s_delay_alu instid0(VALU_DEP_1)
	v_add_co_ci_u32_e64 v1, s2, v3, v1, s2
	ds_store_b64 v4, v[0:1]
.LBB1_24:
	s_or_b32 exec_lo, exec_lo, s3
	s_waitcnt lgkmcnt(0)
	s_barrier
	buffer_gl0_inv
	s_and_saveexec_b32 s2, vcc_lo
	s_cbranch_execz .LBB1_28
; %bb.25:
	v_mov_b32_e32 v4, 0
	s_mov_b32 s3, exec_lo
	s_mov_b32 s2, exec_lo
	v_mbcnt_lo_u32_b32 v5, s3, 0
                                        ; implicit-def: $vgpr2_vgpr3
	ds_load_b64 v[0:1], v4
	v_cmpx_eq_u32_e32 0, v5
	s_cbranch_execz .LBB1_27
; %bb.26:
	s_load_b64 s[0:1], s[0:1], 0x28
	s_bcnt1_i32_b32 s3, s3
	s_waitcnt lgkmcnt(0)
	v_mul_lo_u32 v3, v1, s3
	v_mul_hi_u32 v6, v0, s3
	v_mul_lo_u32 v2, v0, s3
	s_delay_alu instid0(VALU_DEP_2)
	v_add_nc_u32_e32 v3, v6, v3
	global_atomic_add_u64 v[2:3], v4, v[2:3], s[0:1] glc
.LBB1_27:
	s_or_b32 exec_lo, exec_lo, s2
	s_waitcnt vmcnt(0)
	v_readfirstlane_b32 s1, v3
	v_readfirstlane_b32 s0, v2
	s_waitcnt lgkmcnt(0)
	s_delay_alu instid0(VALU_DEP_1) | instskip(NEXT) | instid1(VALU_DEP_1)
	v_mad_u64_u32 v[2:3], null, v0, v5, s[0:1]
	v_mov_b32_e32 v0, v3
	s_delay_alu instid0(VALU_DEP_1) | instskip(NEXT) | instid1(VALU_DEP_1)
	v_mad_u64_u32 v[6:7], null, v1, v5, v[0:1]
	v_mov_b32_e32 v3, v6
	ds_store_b64 v4, v[2:3]
.LBB1_28:
	s_endpgm
	.section	.rodata,"a",@progbits
	.p2align	6, 0x0
	.amdhsa_kernel _ZN9rocsparseL30copy_indexbase_iarray_mix_safeILj1024EilEEvmPT0_21rocsparse_index_base_PKT1_S3_Pm
		.amdhsa_group_segment_fixed_size 8192
		.amdhsa_private_segment_fixed_size 0
		.amdhsa_kernarg_size 48
		.amdhsa_user_sgpr_count 15
		.amdhsa_user_sgpr_dispatch_ptr 0
		.amdhsa_user_sgpr_queue_ptr 0
		.amdhsa_user_sgpr_kernarg_segment_ptr 1
		.amdhsa_user_sgpr_dispatch_id 0
		.amdhsa_user_sgpr_private_segment_size 0
		.amdhsa_wavefront_size32 1
		.amdhsa_uses_dynamic_stack 0
		.amdhsa_enable_private_segment 0
		.amdhsa_system_sgpr_workgroup_id_x 1
		.amdhsa_system_sgpr_workgroup_id_y 0
		.amdhsa_system_sgpr_workgroup_id_z 0
		.amdhsa_system_sgpr_workgroup_info 0
		.amdhsa_system_vgpr_workitem_id 0
		.amdhsa_next_free_vgpr 8
		.amdhsa_next_free_sgpr 16
		.amdhsa_reserve_vcc 1
		.amdhsa_float_round_mode_32 0
		.amdhsa_float_round_mode_16_64 0
		.amdhsa_float_denorm_mode_32 3
		.amdhsa_float_denorm_mode_16_64 3
		.amdhsa_dx10_clamp 1
		.amdhsa_ieee_mode 1
		.amdhsa_fp16_overflow 0
		.amdhsa_workgroup_processor_mode 1
		.amdhsa_memory_ordered 1
		.amdhsa_forward_progress 0
		.amdhsa_shared_vgpr_count 0
		.amdhsa_exception_fp_ieee_invalid_op 0
		.amdhsa_exception_fp_denorm_src 0
		.amdhsa_exception_fp_ieee_div_zero 0
		.amdhsa_exception_fp_ieee_overflow 0
		.amdhsa_exception_fp_ieee_underflow 0
		.amdhsa_exception_fp_ieee_inexact 0
		.amdhsa_exception_int_div_zero 0
	.end_amdhsa_kernel
	.section	.text._ZN9rocsparseL30copy_indexbase_iarray_mix_safeILj1024EilEEvmPT0_21rocsparse_index_base_PKT1_S3_Pm,"axG",@progbits,_ZN9rocsparseL30copy_indexbase_iarray_mix_safeILj1024EilEEvmPT0_21rocsparse_index_base_PKT1_S3_Pm,comdat
.Lfunc_end1:
	.size	_ZN9rocsparseL30copy_indexbase_iarray_mix_safeILj1024EilEEvmPT0_21rocsparse_index_base_PKT1_S3_Pm, .Lfunc_end1-_ZN9rocsparseL30copy_indexbase_iarray_mix_safeILj1024EilEEvmPT0_21rocsparse_index_base_PKT1_S3_Pm
                                        ; -- End function
	.section	.AMDGPU.csdata,"",@progbits
; Kernel info:
; codeLenInByte = 1128
; NumSgprs: 18
; NumVgprs: 8
; ScratchSize: 0
; MemoryBound: 0
; FloatMode: 240
; IeeeMode: 1
; LDSByteSize: 8192 bytes/workgroup (compile time only)
; SGPRBlocks: 2
; VGPRBlocks: 0
; NumSGPRsForWavesPerEU: 18
; NumVGPRsForWavesPerEU: 8
; Occupancy: 16
; WaveLimiterHint : 0
; COMPUTE_PGM_RSRC2:SCRATCH_EN: 0
; COMPUTE_PGM_RSRC2:USER_SGPR: 15
; COMPUTE_PGM_RSRC2:TRAP_HANDLER: 0
; COMPUTE_PGM_RSRC2:TGID_X_EN: 1
; COMPUTE_PGM_RSRC2:TGID_Y_EN: 0
; COMPUTE_PGM_RSRC2:TGID_Z_EN: 0
; COMPUTE_PGM_RSRC2:TIDIG_COMP_CNT: 0
	.section	.text._ZN9rocsparseL30copy_indexbase_iarray_mix_safeILj1024EliEEvmPT0_21rocsparse_index_base_PKT1_S3_Pm,"axG",@progbits,_ZN9rocsparseL30copy_indexbase_iarray_mix_safeILj1024EliEEvmPT0_21rocsparse_index_base_PKT1_S3_Pm,comdat
	.globl	_ZN9rocsparseL30copy_indexbase_iarray_mix_safeILj1024EliEEvmPT0_21rocsparse_index_base_PKT1_S3_Pm ; -- Begin function _ZN9rocsparseL30copy_indexbase_iarray_mix_safeILj1024EliEEvmPT0_21rocsparse_index_base_PKT1_S3_Pm
	.p2align	8
	.type	_ZN9rocsparseL30copy_indexbase_iarray_mix_safeILj1024EliEEvmPT0_21rocsparse_index_base_PKT1_S3_Pm,@function
_ZN9rocsparseL30copy_indexbase_iarray_mix_safeILj1024EliEEvmPT0_21rocsparse_index_base_PKT1_S3_Pm: ; @_ZN9rocsparseL30copy_indexbase_iarray_mix_safeILj1024EliEEvmPT0_21rocsparse_index_base_PKT1_S3_Pm
; %bb.0:
	s_load_b128 s[4:7], s[0:1], 0x0
	v_lshl_or_b32 v1, s15, 10, v0
	v_mov_b32_e32 v2, 0
	s_mov_b32 s2, exec_lo
	s_waitcnt lgkmcnt(0)
	s_delay_alu instid0(VALU_DEP_1)
	v_cmpx_gt_u64_e64 s[4:5], v[1:2]
	s_cbranch_execz .LBB2_2
; %bb.1:
	s_load_b64 s[4:5], s[0:1], 0x18
	v_lshlrev_b64 v[3:4], 2, v[1:2]
	s_load_b32 s3, s[0:1], 0x20
	s_waitcnt lgkmcnt(0)
	s_delay_alu instid0(VALU_DEP_1) | instskip(SKIP_1) | instid1(VALU_DEP_2)
	v_add_co_u32 v3, vcc_lo, s4, v3
	s_load_b32 s4, s[0:1], 0x10
	v_add_co_ci_u32_e32 v4, vcc_lo, s5, v4, vcc_lo
	global_load_b32 v5, v[3:4], off
	v_lshlrev_b64 v[3:4], 3, v[1:2]
	s_waitcnt lgkmcnt(0)
	s_sub_u32 s3, s4, s3
	s_subb_u32 s4, 0, 0
	s_waitcnt vmcnt(0)
	v_ashrrev_i32_e32 v1, 31, v5
	v_add_co_u32 v5, vcc_lo, s3, v5
	s_delay_alu instid0(VALU_DEP_2)
	v_add_co_ci_u32_e32 v6, vcc_lo, s4, v1, vcc_lo
	v_add_co_u32 v3, vcc_lo, s6, v3
	v_add_co_ci_u32_e32 v4, vcc_lo, s7, v4, vcc_lo
	global_store_b64 v[3:4], v[5:6], off
.LBB2_2:
	s_or_b32 exec_lo, exec_lo, s2
	v_lshlrev_b32_e32 v3, 3, v0
	v_mov_b32_e32 v1, v2
	s_mov_b32 s2, exec_lo
	ds_store_b64 v3, v[1:2]
	s_waitcnt lgkmcnt(0)
	s_waitcnt_vscnt null, 0x0
	s_barrier
	buffer_gl0_inv
	v_cmpx_gt_u32_e32 0x200, v0
	s_cbranch_execz .LBB2_4
; %bb.3:
	ds_load_2addr_stride64_b64 v[4:7], v3 offset1:8
	s_waitcnt lgkmcnt(0)
	v_add_co_u32 v1, vcc_lo, v6, v4
	v_add_co_ci_u32_e32 v2, vcc_lo, v7, v5, vcc_lo
	ds_store_b64 v3, v[1:2]
.LBB2_4:
	s_or_b32 exec_lo, exec_lo, s2
	s_delay_alu instid0(SALU_CYCLE_1)
	s_mov_b32 s2, exec_lo
	s_waitcnt lgkmcnt(0)
	s_barrier
	buffer_gl0_inv
	v_cmpx_gt_u32_e32 0x100, v0
	s_cbranch_execz .LBB2_6
; %bb.5:
	ds_load_2addr_stride64_b64 v[4:7], v3 offset1:4
	s_waitcnt lgkmcnt(0)
	v_add_co_u32 v1, vcc_lo, v6, v4
	v_add_co_ci_u32_e32 v2, vcc_lo, v7, v5, vcc_lo
	ds_store_b64 v3, v[1:2]
.LBB2_6:
	s_or_b32 exec_lo, exec_lo, s2
	s_delay_alu instid0(SALU_CYCLE_1)
	s_mov_b32 s2, exec_lo
	s_waitcnt lgkmcnt(0)
	;; [unrolled: 15-line block ×4, first 2 shown]
	s_barrier
	buffer_gl0_inv
	v_cmpx_gt_u32_e32 32, v0
	s_cbranch_execz .LBB2_12
; %bb.11:
	ds_load_2addr_b64 v[4:7], v3 offset1:32
	s_waitcnt lgkmcnt(0)
	v_add_co_u32 v1, vcc_lo, v6, v4
	v_add_co_ci_u32_e32 v2, vcc_lo, v7, v5, vcc_lo
	ds_store_b64 v3, v[1:2]
.LBB2_12:
	s_or_b32 exec_lo, exec_lo, s2
	s_delay_alu instid0(SALU_CYCLE_1)
	s_mov_b32 s2, exec_lo
	s_waitcnt lgkmcnt(0)
	s_barrier
	buffer_gl0_inv
	v_cmpx_gt_u32_e32 16, v0
	s_cbranch_execz .LBB2_14
; %bb.13:
	ds_load_2addr_b64 v[4:7], v3 offset1:16
	s_waitcnt lgkmcnt(0)
	v_add_co_u32 v1, vcc_lo, v6, v4
	v_add_co_ci_u32_e32 v2, vcc_lo, v7, v5, vcc_lo
	ds_store_b64 v3, v[1:2]
.LBB2_14:
	s_or_b32 exec_lo, exec_lo, s2
	s_delay_alu instid0(SALU_CYCLE_1)
	s_mov_b32 s2, exec_lo
	s_waitcnt lgkmcnt(0)
	s_barrier
	buffer_gl0_inv
	v_cmpx_gt_u32_e32 8, v0
	s_cbranch_execz .LBB2_16
; %bb.15:
	ds_load_2addr_b64 v[4:7], v3 offset1:8
	s_waitcnt lgkmcnt(0)
	v_add_co_u32 v1, vcc_lo, v6, v4
	v_add_co_ci_u32_e32 v2, vcc_lo, v7, v5, vcc_lo
	ds_store_b64 v3, v[1:2]
.LBB2_16:
	s_or_b32 exec_lo, exec_lo, s2
	s_delay_alu instid0(SALU_CYCLE_1)
	s_mov_b32 s2, exec_lo
	s_waitcnt lgkmcnt(0)
	s_barrier
	buffer_gl0_inv
	v_cmpx_gt_u32_e32 4, v0
	s_cbranch_execz .LBB2_18
; %bb.17:
	ds_load_2addr_b64 v[4:7], v3 offset1:4
	s_waitcnt lgkmcnt(0)
	v_add_co_u32 v1, vcc_lo, v6, v4
	v_add_co_ci_u32_e32 v2, vcc_lo, v7, v5, vcc_lo
	ds_store_b64 v3, v[1:2]
.LBB2_18:
	s_or_b32 exec_lo, exec_lo, s2
	s_delay_alu instid0(SALU_CYCLE_1)
	s_mov_b32 s2, exec_lo
	s_waitcnt lgkmcnt(0)
	s_barrier
	buffer_gl0_inv
	v_cmpx_gt_u32_e32 2, v0
	s_cbranch_execz .LBB2_20
; %bb.19:
	ds_load_2addr_b64 v[4:7], v3 offset1:2
	s_waitcnt lgkmcnt(0)
	v_add_co_u32 v1, vcc_lo, v6, v4
	v_add_co_ci_u32_e32 v2, vcc_lo, v7, v5, vcc_lo
	ds_store_b64 v3, v[1:2]
.LBB2_20:
	s_or_b32 exec_lo, exec_lo, s2
	v_cmp_eq_u32_e32 vcc_lo, 0, v0
	s_waitcnt lgkmcnt(0)
	s_barrier
	buffer_gl0_inv
	s_and_saveexec_b32 s3, vcc_lo
	s_cbranch_execz .LBB2_22
; %bb.21:
	v_mov_b32_e32 v4, 0
	ds_load_b128 v[0:3], v4
	s_waitcnt lgkmcnt(0)
	v_add_co_u32 v0, s2, v2, v0
	s_delay_alu instid0(VALU_DEP_1)
	v_add_co_ci_u32_e64 v1, s2, v3, v1, s2
	ds_store_b64 v4, v[0:1]
.LBB2_22:
	s_or_b32 exec_lo, exec_lo, s3
	s_waitcnt lgkmcnt(0)
	s_barrier
	buffer_gl0_inv
	s_and_saveexec_b32 s2, vcc_lo
	s_cbranch_execz .LBB2_26
; %bb.23:
	v_mov_b32_e32 v4, 0
	s_mov_b32 s3, exec_lo
	s_mov_b32 s2, exec_lo
	v_mbcnt_lo_u32_b32 v5, s3, 0
                                        ; implicit-def: $vgpr2_vgpr3
	ds_load_b64 v[0:1], v4
	v_cmpx_eq_u32_e32 0, v5
	s_cbranch_execz .LBB2_25
; %bb.24:
	s_load_b64 s[0:1], s[0:1], 0x28
	s_bcnt1_i32_b32 s3, s3
	s_waitcnt lgkmcnt(0)
	v_mul_lo_u32 v3, v1, s3
	v_mul_hi_u32 v6, v0, s3
	v_mul_lo_u32 v2, v0, s3
	s_delay_alu instid0(VALU_DEP_2)
	v_add_nc_u32_e32 v3, v6, v3
	global_atomic_add_u64 v[2:3], v4, v[2:3], s[0:1] glc
.LBB2_25:
	s_or_b32 exec_lo, exec_lo, s2
	s_waitcnt vmcnt(0)
	v_readfirstlane_b32 s1, v3
	v_readfirstlane_b32 s0, v2
	s_waitcnt lgkmcnt(0)
	s_delay_alu instid0(VALU_DEP_1) | instskip(NEXT) | instid1(VALU_DEP_1)
	v_mad_u64_u32 v[2:3], null, v0, v5, s[0:1]
	v_mov_b32_e32 v0, v3
	s_delay_alu instid0(VALU_DEP_1) | instskip(NEXT) | instid1(VALU_DEP_1)
	v_mad_u64_u32 v[6:7], null, v1, v5, v[0:1]
	v_mov_b32_e32 v3, v6
	ds_store_b64 v4, v[2:3]
.LBB2_26:
	s_endpgm
	.section	.rodata,"a",@progbits
	.p2align	6, 0x0
	.amdhsa_kernel _ZN9rocsparseL30copy_indexbase_iarray_mix_safeILj1024EliEEvmPT0_21rocsparse_index_base_PKT1_S3_Pm
		.amdhsa_group_segment_fixed_size 8192
		.amdhsa_private_segment_fixed_size 0
		.amdhsa_kernarg_size 48
		.amdhsa_user_sgpr_count 15
		.amdhsa_user_sgpr_dispatch_ptr 0
		.amdhsa_user_sgpr_queue_ptr 0
		.amdhsa_user_sgpr_kernarg_segment_ptr 1
		.amdhsa_user_sgpr_dispatch_id 0
		.amdhsa_user_sgpr_private_segment_size 0
		.amdhsa_wavefront_size32 1
		.amdhsa_uses_dynamic_stack 0
		.amdhsa_enable_private_segment 0
		.amdhsa_system_sgpr_workgroup_id_x 1
		.amdhsa_system_sgpr_workgroup_id_y 0
		.amdhsa_system_sgpr_workgroup_id_z 0
		.amdhsa_system_sgpr_workgroup_info 0
		.amdhsa_system_vgpr_workitem_id 0
		.amdhsa_next_free_vgpr 8
		.amdhsa_next_free_sgpr 16
		.amdhsa_reserve_vcc 1
		.amdhsa_float_round_mode_32 0
		.amdhsa_float_round_mode_16_64 0
		.amdhsa_float_denorm_mode_32 3
		.amdhsa_float_denorm_mode_16_64 3
		.amdhsa_dx10_clamp 1
		.amdhsa_ieee_mode 1
		.amdhsa_fp16_overflow 0
		.amdhsa_workgroup_processor_mode 1
		.amdhsa_memory_ordered 1
		.amdhsa_forward_progress 0
		.amdhsa_shared_vgpr_count 0
		.amdhsa_exception_fp_ieee_invalid_op 0
		.amdhsa_exception_fp_denorm_src 0
		.amdhsa_exception_fp_ieee_div_zero 0
		.amdhsa_exception_fp_ieee_overflow 0
		.amdhsa_exception_fp_ieee_underflow 0
		.amdhsa_exception_fp_ieee_inexact 0
		.amdhsa_exception_int_div_zero 0
	.end_amdhsa_kernel
	.section	.text._ZN9rocsparseL30copy_indexbase_iarray_mix_safeILj1024EliEEvmPT0_21rocsparse_index_base_PKT1_S3_Pm,"axG",@progbits,_ZN9rocsparseL30copy_indexbase_iarray_mix_safeILj1024EliEEvmPT0_21rocsparse_index_base_PKT1_S3_Pm,comdat
.Lfunc_end2:
	.size	_ZN9rocsparseL30copy_indexbase_iarray_mix_safeILj1024EliEEvmPT0_21rocsparse_index_base_PKT1_S3_Pm, .Lfunc_end2-_ZN9rocsparseL30copy_indexbase_iarray_mix_safeILj1024EliEEvmPT0_21rocsparse_index_base_PKT1_S3_Pm
                                        ; -- End function
	.section	.AMDGPU.csdata,"",@progbits
; Kernel info:
; codeLenInByte = 1068
; NumSgprs: 18
; NumVgprs: 8
; ScratchSize: 0
; MemoryBound: 0
; FloatMode: 240
; IeeeMode: 1
; LDSByteSize: 8192 bytes/workgroup (compile time only)
; SGPRBlocks: 2
; VGPRBlocks: 0
; NumSGPRsForWavesPerEU: 18
; NumVGPRsForWavesPerEU: 8
; Occupancy: 16
; WaveLimiterHint : 0
; COMPUTE_PGM_RSRC2:SCRATCH_EN: 0
; COMPUTE_PGM_RSRC2:USER_SGPR: 15
; COMPUTE_PGM_RSRC2:TRAP_HANDLER: 0
; COMPUTE_PGM_RSRC2:TGID_X_EN: 1
; COMPUTE_PGM_RSRC2:TGID_Y_EN: 0
; COMPUTE_PGM_RSRC2:TGID_Z_EN: 0
; COMPUTE_PGM_RSRC2:TIDIG_COMP_CNT: 0
	.section	.text._ZN9rocsparseL30copy_indexbase_iarray_mix_safeILj1024EllEEvmPT0_21rocsparse_index_base_PKT1_S3_Pm,"axG",@progbits,_ZN9rocsparseL30copy_indexbase_iarray_mix_safeILj1024EllEEvmPT0_21rocsparse_index_base_PKT1_S3_Pm,comdat
	.globl	_ZN9rocsparseL30copy_indexbase_iarray_mix_safeILj1024EllEEvmPT0_21rocsparse_index_base_PKT1_S3_Pm ; -- Begin function _ZN9rocsparseL30copy_indexbase_iarray_mix_safeILj1024EllEEvmPT0_21rocsparse_index_base_PKT1_S3_Pm
	.p2align	8
	.type	_ZN9rocsparseL30copy_indexbase_iarray_mix_safeILj1024EllEEvmPT0_21rocsparse_index_base_PKT1_S3_Pm,@function
_ZN9rocsparseL30copy_indexbase_iarray_mix_safeILj1024EllEEvmPT0_21rocsparse_index_base_PKT1_S3_Pm: ; @_ZN9rocsparseL30copy_indexbase_iarray_mix_safeILj1024EllEEvmPT0_21rocsparse_index_base_PKT1_S3_Pm
; %bb.0:
	s_load_b128 s[4:7], s[0:1], 0x0
	v_lshl_or_b32 v1, s15, 10, v0
	v_mov_b32_e32 v2, 0
	s_mov_b32 s2, exec_lo
	s_waitcnt lgkmcnt(0)
	s_delay_alu instid0(VALU_DEP_1)
	v_cmpx_gt_u64_e64 s[4:5], v[1:2]
	s_cbranch_execz .LBB3_2
; %bb.1:
	s_load_b64 s[4:5], s[0:1], 0x18
	v_lshlrev_b64 v[3:4], 3, v[1:2]
	s_load_b32 s3, s[0:1], 0x20
	s_waitcnt lgkmcnt(0)
	s_delay_alu instid0(VALU_DEP_1) | instskip(SKIP_1) | instid1(VALU_DEP_2)
	v_add_co_u32 v5, vcc_lo, s4, v3
	s_load_b32 s4, s[0:1], 0x10
	v_add_co_ci_u32_e32 v6, vcc_lo, s5, v4, vcc_lo
	global_load_b64 v[5:6], v[5:6], off
	s_waitcnt lgkmcnt(0)
	s_sub_u32 s3, s4, s3
	s_subb_u32 s4, 0, 0
	s_waitcnt vmcnt(0)
	v_add_co_u32 v5, vcc_lo, s3, v5
	v_add_co_ci_u32_e32 v6, vcc_lo, s4, v6, vcc_lo
	v_add_co_u32 v3, vcc_lo, s6, v3
	v_add_co_ci_u32_e32 v4, vcc_lo, s7, v4, vcc_lo
	global_store_b64 v[3:4], v[5:6], off
.LBB3_2:
	s_or_b32 exec_lo, exec_lo, s2
	v_lshlrev_b32_e32 v3, 3, v0
	v_mov_b32_e32 v1, v2
	s_mov_b32 s2, exec_lo
	ds_store_b64 v3, v[1:2]
	s_waitcnt lgkmcnt(0)
	s_waitcnt_vscnt null, 0x0
	s_barrier
	buffer_gl0_inv
	v_cmpx_gt_u32_e32 0x200, v0
	s_cbranch_execz .LBB3_4
; %bb.3:
	ds_load_2addr_stride64_b64 v[4:7], v3 offset1:8
	s_waitcnt lgkmcnt(0)
	v_add_co_u32 v1, vcc_lo, v6, v4
	v_add_co_ci_u32_e32 v2, vcc_lo, v7, v5, vcc_lo
	ds_store_b64 v3, v[1:2]
.LBB3_4:
	s_or_b32 exec_lo, exec_lo, s2
	s_delay_alu instid0(SALU_CYCLE_1)
	s_mov_b32 s2, exec_lo
	s_waitcnt lgkmcnt(0)
	s_barrier
	buffer_gl0_inv
	v_cmpx_gt_u32_e32 0x100, v0
	s_cbranch_execz .LBB3_6
; %bb.5:
	ds_load_2addr_stride64_b64 v[4:7], v3 offset1:4
	s_waitcnt lgkmcnt(0)
	v_add_co_u32 v1, vcc_lo, v6, v4
	v_add_co_ci_u32_e32 v2, vcc_lo, v7, v5, vcc_lo
	ds_store_b64 v3, v[1:2]
.LBB3_6:
	s_or_b32 exec_lo, exec_lo, s2
	s_delay_alu instid0(SALU_CYCLE_1)
	s_mov_b32 s2, exec_lo
	s_waitcnt lgkmcnt(0)
	;; [unrolled: 15-line block ×4, first 2 shown]
	s_barrier
	buffer_gl0_inv
	v_cmpx_gt_u32_e32 32, v0
	s_cbranch_execz .LBB3_12
; %bb.11:
	ds_load_2addr_b64 v[4:7], v3 offset1:32
	s_waitcnt lgkmcnt(0)
	v_add_co_u32 v1, vcc_lo, v6, v4
	v_add_co_ci_u32_e32 v2, vcc_lo, v7, v5, vcc_lo
	ds_store_b64 v3, v[1:2]
.LBB3_12:
	s_or_b32 exec_lo, exec_lo, s2
	s_delay_alu instid0(SALU_CYCLE_1)
	s_mov_b32 s2, exec_lo
	s_waitcnt lgkmcnt(0)
	s_barrier
	buffer_gl0_inv
	v_cmpx_gt_u32_e32 16, v0
	s_cbranch_execz .LBB3_14
; %bb.13:
	ds_load_2addr_b64 v[4:7], v3 offset1:16
	s_waitcnt lgkmcnt(0)
	v_add_co_u32 v1, vcc_lo, v6, v4
	v_add_co_ci_u32_e32 v2, vcc_lo, v7, v5, vcc_lo
	ds_store_b64 v3, v[1:2]
.LBB3_14:
	s_or_b32 exec_lo, exec_lo, s2
	s_delay_alu instid0(SALU_CYCLE_1)
	s_mov_b32 s2, exec_lo
	s_waitcnt lgkmcnt(0)
	;; [unrolled: 15-line block ×4, first 2 shown]
	s_barrier
	buffer_gl0_inv
	v_cmpx_gt_u32_e32 2, v0
	s_cbranch_execz .LBB3_20
; %bb.19:
	ds_load_2addr_b64 v[4:7], v3 offset1:2
	s_waitcnt lgkmcnt(0)
	v_add_co_u32 v1, vcc_lo, v6, v4
	v_add_co_ci_u32_e32 v2, vcc_lo, v7, v5, vcc_lo
	ds_store_b64 v3, v[1:2]
.LBB3_20:
	s_or_b32 exec_lo, exec_lo, s2
	v_cmp_eq_u32_e32 vcc_lo, 0, v0
	s_waitcnt lgkmcnt(0)
	s_barrier
	buffer_gl0_inv
	s_and_saveexec_b32 s3, vcc_lo
	s_cbranch_execz .LBB3_22
; %bb.21:
	v_mov_b32_e32 v4, 0
	ds_load_b128 v[0:3], v4
	s_waitcnt lgkmcnt(0)
	v_add_co_u32 v0, s2, v2, v0
	s_delay_alu instid0(VALU_DEP_1)
	v_add_co_ci_u32_e64 v1, s2, v3, v1, s2
	ds_store_b64 v4, v[0:1]
.LBB3_22:
	s_or_b32 exec_lo, exec_lo, s3
	s_waitcnt lgkmcnt(0)
	s_barrier
	buffer_gl0_inv
	s_and_saveexec_b32 s2, vcc_lo
	s_cbranch_execz .LBB3_26
; %bb.23:
	v_mov_b32_e32 v4, 0
	s_mov_b32 s3, exec_lo
	s_mov_b32 s2, exec_lo
	v_mbcnt_lo_u32_b32 v5, s3, 0
                                        ; implicit-def: $vgpr2_vgpr3
	ds_load_b64 v[0:1], v4
	v_cmpx_eq_u32_e32 0, v5
	s_cbranch_execz .LBB3_25
; %bb.24:
	s_load_b64 s[0:1], s[0:1], 0x28
	s_bcnt1_i32_b32 s3, s3
	s_waitcnt lgkmcnt(0)
	v_mul_lo_u32 v3, v1, s3
	v_mul_hi_u32 v6, v0, s3
	v_mul_lo_u32 v2, v0, s3
	s_delay_alu instid0(VALU_DEP_2)
	v_add_nc_u32_e32 v3, v6, v3
	global_atomic_add_u64 v[2:3], v4, v[2:3], s[0:1] glc
.LBB3_25:
	s_or_b32 exec_lo, exec_lo, s2
	s_waitcnt vmcnt(0)
	v_readfirstlane_b32 s1, v3
	v_readfirstlane_b32 s0, v2
	s_waitcnt lgkmcnt(0)
	s_delay_alu instid0(VALU_DEP_1) | instskip(NEXT) | instid1(VALU_DEP_1)
	v_mad_u64_u32 v[2:3], null, v0, v5, s[0:1]
	v_mov_b32_e32 v0, v3
	s_delay_alu instid0(VALU_DEP_1) | instskip(NEXT) | instid1(VALU_DEP_1)
	v_mad_u64_u32 v[6:7], null, v1, v5, v[0:1]
	v_mov_b32_e32 v3, v6
	ds_store_b64 v4, v[2:3]
.LBB3_26:
	s_endpgm
	.section	.rodata,"a",@progbits
	.p2align	6, 0x0
	.amdhsa_kernel _ZN9rocsparseL30copy_indexbase_iarray_mix_safeILj1024EllEEvmPT0_21rocsparse_index_base_PKT1_S3_Pm
		.amdhsa_group_segment_fixed_size 8192
		.amdhsa_private_segment_fixed_size 0
		.amdhsa_kernarg_size 48
		.amdhsa_user_sgpr_count 15
		.amdhsa_user_sgpr_dispatch_ptr 0
		.amdhsa_user_sgpr_queue_ptr 0
		.amdhsa_user_sgpr_kernarg_segment_ptr 1
		.amdhsa_user_sgpr_dispatch_id 0
		.amdhsa_user_sgpr_private_segment_size 0
		.amdhsa_wavefront_size32 1
		.amdhsa_uses_dynamic_stack 0
		.amdhsa_enable_private_segment 0
		.amdhsa_system_sgpr_workgroup_id_x 1
		.amdhsa_system_sgpr_workgroup_id_y 0
		.amdhsa_system_sgpr_workgroup_id_z 0
		.amdhsa_system_sgpr_workgroup_info 0
		.amdhsa_system_vgpr_workitem_id 0
		.amdhsa_next_free_vgpr 8
		.amdhsa_next_free_sgpr 16
		.amdhsa_reserve_vcc 1
		.amdhsa_float_round_mode_32 0
		.amdhsa_float_round_mode_16_64 0
		.amdhsa_float_denorm_mode_32 3
		.amdhsa_float_denorm_mode_16_64 3
		.amdhsa_dx10_clamp 1
		.amdhsa_ieee_mode 1
		.amdhsa_fp16_overflow 0
		.amdhsa_workgroup_processor_mode 1
		.amdhsa_memory_ordered 1
		.amdhsa_forward_progress 0
		.amdhsa_shared_vgpr_count 0
		.amdhsa_exception_fp_ieee_invalid_op 0
		.amdhsa_exception_fp_denorm_src 0
		.amdhsa_exception_fp_ieee_div_zero 0
		.amdhsa_exception_fp_ieee_overflow 0
		.amdhsa_exception_fp_ieee_underflow 0
		.amdhsa_exception_fp_ieee_inexact 0
		.amdhsa_exception_int_div_zero 0
	.end_amdhsa_kernel
	.section	.text._ZN9rocsparseL30copy_indexbase_iarray_mix_safeILj1024EllEEvmPT0_21rocsparse_index_base_PKT1_S3_Pm,"axG",@progbits,_ZN9rocsparseL30copy_indexbase_iarray_mix_safeILj1024EllEEvmPT0_21rocsparse_index_base_PKT1_S3_Pm,comdat
.Lfunc_end3:
	.size	_ZN9rocsparseL30copy_indexbase_iarray_mix_safeILj1024EllEEvmPT0_21rocsparse_index_base_PKT1_S3_Pm, .Lfunc_end3-_ZN9rocsparseL30copy_indexbase_iarray_mix_safeILj1024EllEEvmPT0_21rocsparse_index_base_PKT1_S3_Pm
                                        ; -- End function
	.section	.AMDGPU.csdata,"",@progbits
; Kernel info:
; codeLenInByte = 1052
; NumSgprs: 18
; NumVgprs: 8
; ScratchSize: 0
; MemoryBound: 0
; FloatMode: 240
; IeeeMode: 1
; LDSByteSize: 8192 bytes/workgroup (compile time only)
; SGPRBlocks: 2
; VGPRBlocks: 0
; NumSGPRsForWavesPerEU: 18
; NumVGPRsForWavesPerEU: 8
; Occupancy: 16
; WaveLimiterHint : 0
; COMPUTE_PGM_RSRC2:SCRATCH_EN: 0
; COMPUTE_PGM_RSRC2:USER_SGPR: 15
; COMPUTE_PGM_RSRC2:TRAP_HANDLER: 0
; COMPUTE_PGM_RSRC2:TGID_X_EN: 1
; COMPUTE_PGM_RSRC2:TGID_Y_EN: 0
; COMPUTE_PGM_RSRC2:TGID_Z_EN: 0
; COMPUTE_PGM_RSRC2:TIDIG_COMP_CNT: 0
	.section	.text._ZN9rocsparseL20copy_iarray_mix_safeILj1024EiiEEvmPT0_mPKT1_mPm,"axG",@progbits,_ZN9rocsparseL20copy_iarray_mix_safeILj1024EiiEEvmPT0_mPKT1_mPm,comdat
	.globl	_ZN9rocsparseL20copy_iarray_mix_safeILj1024EiiEEvmPT0_mPKT1_mPm ; -- Begin function _ZN9rocsparseL20copy_iarray_mix_safeILj1024EiiEEvmPT0_mPKT1_mPm
	.p2align	8
	.type	_ZN9rocsparseL20copy_iarray_mix_safeILj1024EiiEEvmPT0_mPKT1_mPm,@function
_ZN9rocsparseL20copy_iarray_mix_safeILj1024EiiEEvmPT0_mPKT1_mPm: ; @_ZN9rocsparseL20copy_iarray_mix_safeILj1024EiiEEvmPT0_mPKT1_mPm
; %bb.0:
	s_clause 0x1
	s_load_b256 s[4:11], s[0:1], 0x0
	s_load_b128 s[0:3], s[0:1], 0x20
	v_lshl_or_b32 v1, s15, 10, v0
	v_mov_b32_e32 v2, 0
	s_waitcnt lgkmcnt(0)
	s_delay_alu instid0(VALU_DEP_1)
	v_cmp_gt_u64_e32 vcc_lo, s[4:5], v[1:2]
	s_and_saveexec_b32 s4, vcc_lo
	s_cbranch_execz .LBB4_2
; %bb.1:
	v_mad_u64_u32 v[3:4], null, v1, s0, 0
	s_delay_alu instid0(VALU_DEP_1) | instskip(NEXT) | instid1(VALU_DEP_1)
	v_mad_u64_u32 v[5:6], null, v1, s1, v[4:5]
	v_mov_b32_e32 v4, v5
	s_delay_alu instid0(VALU_DEP_1) | instskip(NEXT) | instid1(VALU_DEP_1)
	v_lshlrev_b64 v[3:4], 2, v[3:4]
	v_add_co_u32 v3, vcc_lo, s10, v3
	s_delay_alu instid0(VALU_DEP_2) | instskip(SKIP_2) | instid1(VALU_DEP_1)
	v_add_co_ci_u32_e32 v4, vcc_lo, s11, v4, vcc_lo
	global_load_b32 v7, v[3:4], off
	v_mad_u64_u32 v[3:4], null, v1, s8, 0
	v_mad_u64_u32 v[5:6], null, v1, s9, v[4:5]
	s_delay_alu instid0(VALU_DEP_1) | instskip(NEXT) | instid1(VALU_DEP_1)
	v_mov_b32_e32 v4, v5
	v_lshlrev_b64 v[3:4], 2, v[3:4]
	s_delay_alu instid0(VALU_DEP_1) | instskip(NEXT) | instid1(VALU_DEP_2)
	v_add_co_u32 v3, vcc_lo, s6, v3
	v_add_co_ci_u32_e32 v4, vcc_lo, s7, v4, vcc_lo
	s_waitcnt vmcnt(0)
	global_store_b32 v[3:4], v7, off
.LBB4_2:
	s_or_b32 exec_lo, exec_lo, s4
	v_lshlrev_b32_e32 v3, 3, v0
	v_mov_b32_e32 v1, v2
	s_mov_b32 s0, exec_lo
	ds_store_b64 v3, v[1:2]
	s_waitcnt lgkmcnt(0)
	s_waitcnt_vscnt null, 0x0
	s_barrier
	buffer_gl0_inv
	v_cmpx_gt_u32_e32 0x200, v0
	s_cbranch_execz .LBB4_4
; %bb.3:
	ds_load_2addr_stride64_b64 v[4:7], v3 offset1:8
	s_waitcnt lgkmcnt(0)
	v_add_co_u32 v1, vcc_lo, v6, v4
	v_add_co_ci_u32_e32 v2, vcc_lo, v7, v5, vcc_lo
	ds_store_b64 v3, v[1:2]
.LBB4_4:
	s_or_b32 exec_lo, exec_lo, s0
	s_delay_alu instid0(SALU_CYCLE_1)
	s_mov_b32 s0, exec_lo
	s_waitcnt lgkmcnt(0)
	s_barrier
	buffer_gl0_inv
	v_cmpx_gt_u32_e32 0x100, v0
	s_cbranch_execz .LBB4_6
; %bb.5:
	ds_load_2addr_stride64_b64 v[4:7], v3 offset1:4
	s_waitcnt lgkmcnt(0)
	v_add_co_u32 v1, vcc_lo, v6, v4
	v_add_co_ci_u32_e32 v2, vcc_lo, v7, v5, vcc_lo
	ds_store_b64 v3, v[1:2]
.LBB4_6:
	s_or_b32 exec_lo, exec_lo, s0
	s_delay_alu instid0(SALU_CYCLE_1)
	s_mov_b32 s0, exec_lo
	s_waitcnt lgkmcnt(0)
	;; [unrolled: 15-line block ×4, first 2 shown]
	s_barrier
	buffer_gl0_inv
	v_cmpx_gt_u32_e32 32, v0
	s_cbranch_execz .LBB4_12
; %bb.11:
	ds_load_2addr_b64 v[4:7], v3 offset1:32
	s_waitcnt lgkmcnt(0)
	v_add_co_u32 v1, vcc_lo, v6, v4
	v_add_co_ci_u32_e32 v2, vcc_lo, v7, v5, vcc_lo
	ds_store_b64 v3, v[1:2]
.LBB4_12:
	s_or_b32 exec_lo, exec_lo, s0
	s_delay_alu instid0(SALU_CYCLE_1)
	s_mov_b32 s0, exec_lo
	s_waitcnt lgkmcnt(0)
	s_barrier
	buffer_gl0_inv
	v_cmpx_gt_u32_e32 16, v0
	s_cbranch_execz .LBB4_14
; %bb.13:
	ds_load_2addr_b64 v[4:7], v3 offset1:16
	s_waitcnt lgkmcnt(0)
	v_add_co_u32 v1, vcc_lo, v6, v4
	v_add_co_ci_u32_e32 v2, vcc_lo, v7, v5, vcc_lo
	ds_store_b64 v3, v[1:2]
.LBB4_14:
	s_or_b32 exec_lo, exec_lo, s0
	s_delay_alu instid0(SALU_CYCLE_1)
	s_mov_b32 s0, exec_lo
	s_waitcnt lgkmcnt(0)
	;; [unrolled: 15-line block ×4, first 2 shown]
	s_barrier
	buffer_gl0_inv
	v_cmpx_gt_u32_e32 2, v0
	s_cbranch_execz .LBB4_20
; %bb.19:
	ds_load_2addr_b64 v[4:7], v3 offset1:2
	s_waitcnt lgkmcnt(0)
	v_add_co_u32 v1, vcc_lo, v6, v4
	v_add_co_ci_u32_e32 v2, vcc_lo, v7, v5, vcc_lo
	ds_store_b64 v3, v[1:2]
.LBB4_20:
	s_or_b32 exec_lo, exec_lo, s0
	v_cmp_eq_u32_e32 vcc_lo, 0, v0
	s_waitcnt lgkmcnt(0)
	s_barrier
	buffer_gl0_inv
	s_and_saveexec_b32 s1, vcc_lo
	s_cbranch_execz .LBB4_22
; %bb.21:
	v_mov_b32_e32 v4, 0
	ds_load_b128 v[0:3], v4
	s_waitcnt lgkmcnt(0)
	v_add_co_u32 v0, s0, v2, v0
	s_delay_alu instid0(VALU_DEP_1)
	v_add_co_ci_u32_e64 v1, s0, v3, v1, s0
	ds_store_b64 v4, v[0:1]
.LBB4_22:
	s_or_b32 exec_lo, exec_lo, s1
	s_waitcnt lgkmcnt(0)
	s_barrier
	buffer_gl0_inv
	s_and_saveexec_b32 s0, vcc_lo
	s_cbranch_execz .LBB4_26
; %bb.23:
	v_mov_b32_e32 v4, 0
	s_mov_b32 s1, exec_lo
	s_mov_b32 s0, exec_lo
	v_mbcnt_lo_u32_b32 v5, s1, 0
                                        ; implicit-def: $vgpr2_vgpr3
	ds_load_b64 v[0:1], v4
	v_cmpx_eq_u32_e32 0, v5
	s_cbranch_execz .LBB4_25
; %bb.24:
	s_bcnt1_i32_b32 s1, s1
	s_waitcnt lgkmcnt(0)
	v_mul_lo_u32 v3, v1, s1
	v_mul_hi_u32 v6, v0, s1
	v_mul_lo_u32 v2, v0, s1
	s_delay_alu instid0(VALU_DEP_2)
	v_add_nc_u32_e32 v3, v6, v3
	global_atomic_add_u64 v[2:3], v4, v[2:3], s[2:3] glc
.LBB4_25:
	s_or_b32 exec_lo, exec_lo, s0
	s_waitcnt vmcnt(0)
	v_readfirstlane_b32 s1, v3
	v_readfirstlane_b32 s0, v2
	s_waitcnt lgkmcnt(0)
	s_delay_alu instid0(VALU_DEP_1) | instskip(NEXT) | instid1(VALU_DEP_1)
	v_mad_u64_u32 v[2:3], null, v0, v5, s[0:1]
	v_mov_b32_e32 v0, v3
	s_delay_alu instid0(VALU_DEP_1) | instskip(NEXT) | instid1(VALU_DEP_1)
	v_mad_u64_u32 v[6:7], null, v1, v5, v[0:1]
	v_mov_b32_e32 v3, v6
	ds_store_b64 v4, v[2:3]
.LBB4_26:
	s_endpgm
	.section	.rodata,"a",@progbits
	.p2align	6, 0x0
	.amdhsa_kernel _ZN9rocsparseL20copy_iarray_mix_safeILj1024EiiEEvmPT0_mPKT1_mPm
		.amdhsa_group_segment_fixed_size 8192
		.amdhsa_private_segment_fixed_size 0
		.amdhsa_kernarg_size 48
		.amdhsa_user_sgpr_count 15
		.amdhsa_user_sgpr_dispatch_ptr 0
		.amdhsa_user_sgpr_queue_ptr 0
		.amdhsa_user_sgpr_kernarg_segment_ptr 1
		.amdhsa_user_sgpr_dispatch_id 0
		.amdhsa_user_sgpr_private_segment_size 0
		.amdhsa_wavefront_size32 1
		.amdhsa_uses_dynamic_stack 0
		.amdhsa_enable_private_segment 0
		.amdhsa_system_sgpr_workgroup_id_x 1
		.amdhsa_system_sgpr_workgroup_id_y 0
		.amdhsa_system_sgpr_workgroup_id_z 0
		.amdhsa_system_sgpr_workgroup_info 0
		.amdhsa_system_vgpr_workitem_id 0
		.amdhsa_next_free_vgpr 8
		.amdhsa_next_free_sgpr 16
		.amdhsa_reserve_vcc 1
		.amdhsa_float_round_mode_32 0
		.amdhsa_float_round_mode_16_64 0
		.amdhsa_float_denorm_mode_32 3
		.amdhsa_float_denorm_mode_16_64 3
		.amdhsa_dx10_clamp 1
		.amdhsa_ieee_mode 1
		.amdhsa_fp16_overflow 0
		.amdhsa_workgroup_processor_mode 1
		.amdhsa_memory_ordered 1
		.amdhsa_forward_progress 0
		.amdhsa_shared_vgpr_count 0
		.amdhsa_exception_fp_ieee_invalid_op 0
		.amdhsa_exception_fp_denorm_src 0
		.amdhsa_exception_fp_ieee_div_zero 0
		.amdhsa_exception_fp_ieee_overflow 0
		.amdhsa_exception_fp_ieee_underflow 0
		.amdhsa_exception_fp_ieee_inexact 0
		.amdhsa_exception_int_div_zero 0
	.end_amdhsa_kernel
	.section	.text._ZN9rocsparseL20copy_iarray_mix_safeILj1024EiiEEvmPT0_mPKT1_mPm,"axG",@progbits,_ZN9rocsparseL20copy_iarray_mix_safeILj1024EiiEEvmPT0_mPKT1_mPm,comdat
.Lfunc_end4:
	.size	_ZN9rocsparseL20copy_iarray_mix_safeILj1024EiiEEvmPT0_mPKT1_mPm, .Lfunc_end4-_ZN9rocsparseL20copy_iarray_mix_safeILj1024EiiEEvmPT0_mPKT1_mPm
                                        ; -- End function
	.section	.AMDGPU.csdata,"",@progbits
; Kernel info:
; codeLenInByte = 1064
; NumSgprs: 18
; NumVgprs: 8
; ScratchSize: 0
; MemoryBound: 0
; FloatMode: 240
; IeeeMode: 1
; LDSByteSize: 8192 bytes/workgroup (compile time only)
; SGPRBlocks: 2
; VGPRBlocks: 0
; NumSGPRsForWavesPerEU: 18
; NumVGPRsForWavesPerEU: 8
; Occupancy: 16
; WaveLimiterHint : 0
; COMPUTE_PGM_RSRC2:SCRATCH_EN: 0
; COMPUTE_PGM_RSRC2:USER_SGPR: 15
; COMPUTE_PGM_RSRC2:TRAP_HANDLER: 0
; COMPUTE_PGM_RSRC2:TGID_X_EN: 1
; COMPUTE_PGM_RSRC2:TGID_Y_EN: 0
; COMPUTE_PGM_RSRC2:TGID_Z_EN: 0
; COMPUTE_PGM_RSRC2:TIDIG_COMP_CNT: 0
	.section	.text._ZN9rocsparseL20copy_iarray_mix_safeILj1024EilEEvmPT0_mPKT1_mPm,"axG",@progbits,_ZN9rocsparseL20copy_iarray_mix_safeILj1024EilEEvmPT0_mPKT1_mPm,comdat
	.globl	_ZN9rocsparseL20copy_iarray_mix_safeILj1024EilEEvmPT0_mPKT1_mPm ; -- Begin function _ZN9rocsparseL20copy_iarray_mix_safeILj1024EilEEvmPT0_mPKT1_mPm
	.p2align	8
	.type	_ZN9rocsparseL20copy_iarray_mix_safeILj1024EilEEvmPT0_mPKT1_mPm,@function
_ZN9rocsparseL20copy_iarray_mix_safeILj1024EilEEvmPT0_mPKT1_mPm: ; @_ZN9rocsparseL20copy_iarray_mix_safeILj1024EilEEvmPT0_mPKT1_mPm
; %bb.0:
	s_clause 0x1
	s_load_b256 s[4:11], s[0:1], 0x0
	s_load_b128 s[0:3], s[0:1], 0x20
	v_dual_mov_b32 v2, 0 :: v_dual_mov_b32 v3, 0
	v_lshl_or_b32 v1, s15, 10, v0
	v_mov_b32_e32 v4, 0
	s_waitcnt lgkmcnt(0)
	s_delay_alu instid0(VALU_DEP_2)
	v_cmp_gt_u64_e32 vcc_lo, s[4:5], v[1:2]
	s_and_saveexec_b32 s4, vcc_lo
	s_cbranch_execz .LBB5_4
; %bb.1:
	v_mad_u64_u32 v[2:3], null, v1, s0, 0
	s_delay_alu instid0(VALU_DEP_1) | instskip(SKIP_2) | instid1(VALU_DEP_1)
	v_mad_u64_u32 v[4:5], null, v1, s1, v[3:4]
	s_mov_b32 s0, -1
	s_mov_b32 s1, -2
	v_mov_b32_e32 v3, v4
	s_delay_alu instid0(VALU_DEP_1) | instskip(NEXT) | instid1(VALU_DEP_1)
	v_lshlrev_b64 v[2:3], 3, v[2:3]
	v_add_co_u32 v2, vcc_lo, s10, v2
	s_delay_alu instid0(VALU_DEP_2) | instskip(SKIP_4) | instid1(VALU_DEP_1)
	v_add_co_ci_u32_e32 v3, vcc_lo, s11, v3, vcc_lo
	global_load_b64 v[2:3], v[2:3], off
	s_waitcnt vmcnt(0)
	v_add_co_u32 v4, vcc_lo, 0x80000000, v2
	v_add_co_ci_u32_e32 v5, vcc_lo, -1, v3, vcc_lo
	v_cmp_lt_u64_e32 vcc_lo, s[0:1], v[4:5]
	v_mov_b32_e32 v3, 1
	v_mov_b32_e32 v4, 0
	s_and_saveexec_b32 s0, vcc_lo
	s_cbranch_execz .LBB5_3
; %bb.2:
	v_mad_u64_u32 v[3:4], null, v1, s8, 0
	s_delay_alu instid0(VALU_DEP_1) | instskip(NEXT) | instid1(VALU_DEP_1)
	v_mad_u64_u32 v[5:6], null, v1, s9, v[4:5]
	v_mov_b32_e32 v4, v5
	s_delay_alu instid0(VALU_DEP_1) | instskip(NEXT) | instid1(VALU_DEP_1)
	v_lshlrev_b64 v[3:4], 2, v[3:4]
	v_add_co_u32 v5, vcc_lo, s6, v3
	s_delay_alu instid0(VALU_DEP_2)
	v_add_co_ci_u32_e32 v6, vcc_lo, s7, v4, vcc_lo
	v_mov_b32_e32 v3, 0
	v_mov_b32_e32 v4, 0
	global_store_b32 v[5:6], v2, off
.LBB5_3:
	s_or_b32 exec_lo, exec_lo, s0
.LBB5_4:
	s_delay_alu instid0(SALU_CYCLE_1)
	s_or_b32 exec_lo, exec_lo, s4
	v_lshlrev_b32_e32 v1, 3, v0
	s_mov_b32 s0, exec_lo
	ds_store_b64 v1, v[3:4]
	s_waitcnt lgkmcnt(0)
	s_waitcnt_vscnt null, 0x0
	s_barrier
	buffer_gl0_inv
	v_cmpx_gt_u32_e32 0x200, v0
	s_cbranch_execz .LBB5_6
; %bb.5:
	ds_load_2addr_stride64_b64 v[2:5], v1 offset1:8
	s_waitcnt lgkmcnt(0)
	v_add_co_u32 v2, vcc_lo, v4, v2
	v_add_co_ci_u32_e32 v3, vcc_lo, v5, v3, vcc_lo
	ds_store_b64 v1, v[2:3]
.LBB5_6:
	s_or_b32 exec_lo, exec_lo, s0
	s_delay_alu instid0(SALU_CYCLE_1)
	s_mov_b32 s0, exec_lo
	s_waitcnt lgkmcnt(0)
	s_barrier
	buffer_gl0_inv
	v_cmpx_gt_u32_e32 0x100, v0
	s_cbranch_execz .LBB5_8
; %bb.7:
	ds_load_2addr_stride64_b64 v[2:5], v1 offset1:4
	s_waitcnt lgkmcnt(0)
	v_add_co_u32 v2, vcc_lo, v4, v2
	v_add_co_ci_u32_e32 v3, vcc_lo, v5, v3, vcc_lo
	ds_store_b64 v1, v[2:3]
.LBB5_8:
	s_or_b32 exec_lo, exec_lo, s0
	s_delay_alu instid0(SALU_CYCLE_1)
	s_mov_b32 s0, exec_lo
	s_waitcnt lgkmcnt(0)
	;; [unrolled: 15-line block ×4, first 2 shown]
	s_barrier
	buffer_gl0_inv
	v_cmpx_gt_u32_e32 32, v0
	s_cbranch_execz .LBB5_14
; %bb.13:
	ds_load_2addr_b64 v[2:5], v1 offset1:32
	s_waitcnt lgkmcnt(0)
	v_add_co_u32 v2, vcc_lo, v4, v2
	v_add_co_ci_u32_e32 v3, vcc_lo, v5, v3, vcc_lo
	ds_store_b64 v1, v[2:3]
.LBB5_14:
	s_or_b32 exec_lo, exec_lo, s0
	s_delay_alu instid0(SALU_CYCLE_1)
	s_mov_b32 s0, exec_lo
	s_waitcnt lgkmcnt(0)
	s_barrier
	buffer_gl0_inv
	v_cmpx_gt_u32_e32 16, v0
	s_cbranch_execz .LBB5_16
; %bb.15:
	ds_load_2addr_b64 v[2:5], v1 offset1:16
	s_waitcnt lgkmcnt(0)
	v_add_co_u32 v2, vcc_lo, v4, v2
	v_add_co_ci_u32_e32 v3, vcc_lo, v5, v3, vcc_lo
	ds_store_b64 v1, v[2:3]
.LBB5_16:
	s_or_b32 exec_lo, exec_lo, s0
	s_delay_alu instid0(SALU_CYCLE_1)
	s_mov_b32 s0, exec_lo
	s_waitcnt lgkmcnt(0)
	;; [unrolled: 15-line block ×4, first 2 shown]
	s_barrier
	buffer_gl0_inv
	v_cmpx_gt_u32_e32 2, v0
	s_cbranch_execz .LBB5_22
; %bb.21:
	ds_load_2addr_b64 v[2:5], v1 offset1:2
	s_waitcnt lgkmcnt(0)
	v_add_co_u32 v2, vcc_lo, v4, v2
	v_add_co_ci_u32_e32 v3, vcc_lo, v5, v3, vcc_lo
	ds_store_b64 v1, v[2:3]
.LBB5_22:
	s_or_b32 exec_lo, exec_lo, s0
	v_cmp_eq_u32_e32 vcc_lo, 0, v0
	s_waitcnt lgkmcnt(0)
	s_barrier
	buffer_gl0_inv
	s_and_saveexec_b32 s1, vcc_lo
	s_cbranch_execz .LBB5_24
; %bb.23:
	v_mov_b32_e32 v4, 0
	ds_load_b128 v[0:3], v4
	s_waitcnt lgkmcnt(0)
	v_add_co_u32 v0, s0, v2, v0
	s_delay_alu instid0(VALU_DEP_1)
	v_add_co_ci_u32_e64 v1, s0, v3, v1, s0
	ds_store_b64 v4, v[0:1]
.LBB5_24:
	s_or_b32 exec_lo, exec_lo, s1
	s_waitcnt lgkmcnt(0)
	s_barrier
	buffer_gl0_inv
	s_and_saveexec_b32 s0, vcc_lo
	s_cbranch_execz .LBB5_28
; %bb.25:
	v_mov_b32_e32 v4, 0
	s_mov_b32 s1, exec_lo
	s_mov_b32 s0, exec_lo
	v_mbcnt_lo_u32_b32 v5, s1, 0
                                        ; implicit-def: $vgpr2_vgpr3
	ds_load_b64 v[0:1], v4
	v_cmpx_eq_u32_e32 0, v5
	s_cbranch_execz .LBB5_27
; %bb.26:
	s_bcnt1_i32_b32 s1, s1
	s_waitcnt lgkmcnt(0)
	v_mul_lo_u32 v3, v1, s1
	v_mul_hi_u32 v6, v0, s1
	v_mul_lo_u32 v2, v0, s1
	s_delay_alu instid0(VALU_DEP_2)
	v_add_nc_u32_e32 v3, v6, v3
	global_atomic_add_u64 v[2:3], v4, v[2:3], s[2:3] glc
.LBB5_27:
	s_or_b32 exec_lo, exec_lo, s0
	s_waitcnt vmcnt(0)
	v_readfirstlane_b32 s1, v3
	v_readfirstlane_b32 s0, v2
	s_waitcnt lgkmcnt(0)
	s_delay_alu instid0(VALU_DEP_1) | instskip(NEXT) | instid1(VALU_DEP_1)
	v_mad_u64_u32 v[2:3], null, v0, v5, s[0:1]
	v_mov_b32_e32 v0, v3
	s_delay_alu instid0(VALU_DEP_1) | instskip(NEXT) | instid1(VALU_DEP_1)
	v_mad_u64_u32 v[6:7], null, v1, v5, v[0:1]
	v_mov_b32_e32 v3, v6
	ds_store_b64 v4, v[2:3]
.LBB5_28:
	s_endpgm
	.section	.rodata,"a",@progbits
	.p2align	6, 0x0
	.amdhsa_kernel _ZN9rocsparseL20copy_iarray_mix_safeILj1024EilEEvmPT0_mPKT1_mPm
		.amdhsa_group_segment_fixed_size 8192
		.amdhsa_private_segment_fixed_size 0
		.amdhsa_kernarg_size 48
		.amdhsa_user_sgpr_count 15
		.amdhsa_user_sgpr_dispatch_ptr 0
		.amdhsa_user_sgpr_queue_ptr 0
		.amdhsa_user_sgpr_kernarg_segment_ptr 1
		.amdhsa_user_sgpr_dispatch_id 0
		.amdhsa_user_sgpr_private_segment_size 0
		.amdhsa_wavefront_size32 1
		.amdhsa_uses_dynamic_stack 0
		.amdhsa_enable_private_segment 0
		.amdhsa_system_sgpr_workgroup_id_x 1
		.amdhsa_system_sgpr_workgroup_id_y 0
		.amdhsa_system_sgpr_workgroup_id_z 0
		.amdhsa_system_sgpr_workgroup_info 0
		.amdhsa_system_vgpr_workitem_id 0
		.amdhsa_next_free_vgpr 8
		.amdhsa_next_free_sgpr 16
		.amdhsa_reserve_vcc 1
		.amdhsa_float_round_mode_32 0
		.amdhsa_float_round_mode_16_64 0
		.amdhsa_float_denorm_mode_32 3
		.amdhsa_float_denorm_mode_16_64 3
		.amdhsa_dx10_clamp 1
		.amdhsa_ieee_mode 1
		.amdhsa_fp16_overflow 0
		.amdhsa_workgroup_processor_mode 1
		.amdhsa_memory_ordered 1
		.amdhsa_forward_progress 0
		.amdhsa_shared_vgpr_count 0
		.amdhsa_exception_fp_ieee_invalid_op 0
		.amdhsa_exception_fp_denorm_src 0
		.amdhsa_exception_fp_ieee_div_zero 0
		.amdhsa_exception_fp_ieee_overflow 0
		.amdhsa_exception_fp_ieee_underflow 0
		.amdhsa_exception_fp_ieee_inexact 0
		.amdhsa_exception_int_div_zero 0
	.end_amdhsa_kernel
	.section	.text._ZN9rocsparseL20copy_iarray_mix_safeILj1024EilEEvmPT0_mPKT1_mPm,"axG",@progbits,_ZN9rocsparseL20copy_iarray_mix_safeILj1024EilEEvmPT0_mPKT1_mPm,comdat
.Lfunc_end5:
	.size	_ZN9rocsparseL20copy_iarray_mix_safeILj1024EilEEvmPT0_mPKT1_mPm, .Lfunc_end5-_ZN9rocsparseL20copy_iarray_mix_safeILj1024EilEEvmPT0_mPKT1_mPm
                                        ; -- End function
	.section	.AMDGPU.csdata,"",@progbits
; Kernel info:
; codeLenInByte = 1132
; NumSgprs: 18
; NumVgprs: 8
; ScratchSize: 0
; MemoryBound: 0
; FloatMode: 240
; IeeeMode: 1
; LDSByteSize: 8192 bytes/workgroup (compile time only)
; SGPRBlocks: 2
; VGPRBlocks: 0
; NumSGPRsForWavesPerEU: 18
; NumVGPRsForWavesPerEU: 8
; Occupancy: 16
; WaveLimiterHint : 0
; COMPUTE_PGM_RSRC2:SCRATCH_EN: 0
; COMPUTE_PGM_RSRC2:USER_SGPR: 15
; COMPUTE_PGM_RSRC2:TRAP_HANDLER: 0
; COMPUTE_PGM_RSRC2:TGID_X_EN: 1
; COMPUTE_PGM_RSRC2:TGID_Y_EN: 0
; COMPUTE_PGM_RSRC2:TGID_Z_EN: 0
; COMPUTE_PGM_RSRC2:TIDIG_COMP_CNT: 0
	.section	.text._ZN9rocsparseL20copy_iarray_mix_safeILj1024EliEEvmPT0_mPKT1_mPm,"axG",@progbits,_ZN9rocsparseL20copy_iarray_mix_safeILj1024EliEEvmPT0_mPKT1_mPm,comdat
	.globl	_ZN9rocsparseL20copy_iarray_mix_safeILj1024EliEEvmPT0_mPKT1_mPm ; -- Begin function _ZN9rocsparseL20copy_iarray_mix_safeILj1024EliEEvmPT0_mPKT1_mPm
	.p2align	8
	.type	_ZN9rocsparseL20copy_iarray_mix_safeILj1024EliEEvmPT0_mPKT1_mPm,@function
_ZN9rocsparseL20copy_iarray_mix_safeILj1024EliEEvmPT0_mPKT1_mPm: ; @_ZN9rocsparseL20copy_iarray_mix_safeILj1024EliEEvmPT0_mPKT1_mPm
; %bb.0:
	s_clause 0x1
	s_load_b256 s[4:11], s[0:1], 0x0
	s_load_b128 s[0:3], s[0:1], 0x20
	v_lshl_or_b32 v1, s15, 10, v0
	v_mov_b32_e32 v2, 0
	s_waitcnt lgkmcnt(0)
	s_delay_alu instid0(VALU_DEP_1)
	v_cmp_gt_u64_e32 vcc_lo, s[4:5], v[1:2]
	s_and_saveexec_b32 s4, vcc_lo
	s_cbranch_execz .LBB6_2
; %bb.1:
	v_mad_u64_u32 v[3:4], null, v1, s0, 0
	s_delay_alu instid0(VALU_DEP_1) | instskip(NEXT) | instid1(VALU_DEP_1)
	v_mad_u64_u32 v[5:6], null, v1, s1, v[4:5]
	v_mov_b32_e32 v4, v5
	s_delay_alu instid0(VALU_DEP_1) | instskip(NEXT) | instid1(VALU_DEP_1)
	v_lshlrev_b64 v[3:4], 2, v[3:4]
	v_add_co_u32 v3, vcc_lo, s10, v3
	s_delay_alu instid0(VALU_DEP_2) | instskip(SKIP_2) | instid1(VALU_DEP_1)
	v_add_co_ci_u32_e32 v4, vcc_lo, s11, v4, vcc_lo
	global_load_b32 v3, v[3:4], off
	v_mad_u64_u32 v[4:5], null, v1, s8, 0
	v_mad_u64_u32 v[6:7], null, v1, s9, v[5:6]
	s_delay_alu instid0(VALU_DEP_1) | instskip(NEXT) | instid1(VALU_DEP_1)
	v_mov_b32_e32 v5, v6
	v_lshlrev_b64 v[5:6], 3, v[4:5]
	s_delay_alu instid0(VALU_DEP_1) | instskip(NEXT) | instid1(VALU_DEP_2)
	v_add_co_u32 v5, vcc_lo, s6, v5
	v_add_co_ci_u32_e32 v6, vcc_lo, s7, v6, vcc_lo
	s_waitcnt vmcnt(0)
	v_ashrrev_i32_e32 v4, 31, v3
	global_store_b64 v[5:6], v[3:4], off
.LBB6_2:
	s_or_b32 exec_lo, exec_lo, s4
	v_lshlrev_b32_e32 v3, 3, v0
	v_mov_b32_e32 v1, v2
	s_mov_b32 s0, exec_lo
	ds_store_b64 v3, v[1:2]
	s_waitcnt lgkmcnt(0)
	s_waitcnt_vscnt null, 0x0
	s_barrier
	buffer_gl0_inv
	v_cmpx_gt_u32_e32 0x200, v0
	s_cbranch_execz .LBB6_4
; %bb.3:
	ds_load_2addr_stride64_b64 v[4:7], v3 offset1:8
	s_waitcnt lgkmcnt(0)
	v_add_co_u32 v1, vcc_lo, v6, v4
	v_add_co_ci_u32_e32 v2, vcc_lo, v7, v5, vcc_lo
	ds_store_b64 v3, v[1:2]
.LBB6_4:
	s_or_b32 exec_lo, exec_lo, s0
	s_delay_alu instid0(SALU_CYCLE_1)
	s_mov_b32 s0, exec_lo
	s_waitcnt lgkmcnt(0)
	s_barrier
	buffer_gl0_inv
	v_cmpx_gt_u32_e32 0x100, v0
	s_cbranch_execz .LBB6_6
; %bb.5:
	ds_load_2addr_stride64_b64 v[4:7], v3 offset1:4
	s_waitcnt lgkmcnt(0)
	v_add_co_u32 v1, vcc_lo, v6, v4
	v_add_co_ci_u32_e32 v2, vcc_lo, v7, v5, vcc_lo
	ds_store_b64 v3, v[1:2]
.LBB6_6:
	s_or_b32 exec_lo, exec_lo, s0
	s_delay_alu instid0(SALU_CYCLE_1)
	s_mov_b32 s0, exec_lo
	s_waitcnt lgkmcnt(0)
	s_barrier
	buffer_gl0_inv
	v_cmpx_gt_u32_e32 0x80, v0
	s_cbranch_execz .LBB6_8
; %bb.7:
	ds_load_2addr_stride64_b64 v[4:7], v3 offset1:2
	s_waitcnt lgkmcnt(0)
	v_add_co_u32 v1, vcc_lo, v6, v4
	v_add_co_ci_u32_e32 v2, vcc_lo, v7, v5, vcc_lo
	ds_store_b64 v3, v[1:2]
.LBB6_8:
	s_or_b32 exec_lo, exec_lo, s0
	s_delay_alu instid0(SALU_CYCLE_1)
	s_mov_b32 s0, exec_lo
	s_waitcnt lgkmcnt(0)
	s_barrier
	buffer_gl0_inv
	v_cmpx_gt_u32_e32 64, v0
	s_cbranch_execz .LBB6_10
; %bb.9:
	ds_load_2addr_stride64_b64 v[4:7], v3 offset1:1
	s_waitcnt lgkmcnt(0)
	v_add_co_u32 v1, vcc_lo, v6, v4
	v_add_co_ci_u32_e32 v2, vcc_lo, v7, v5, vcc_lo
	ds_store_b64 v3, v[1:2]
.LBB6_10:
	s_or_b32 exec_lo, exec_lo, s0
	s_delay_alu instid0(SALU_CYCLE_1)
	s_mov_b32 s0, exec_lo
	s_waitcnt lgkmcnt(0)
	s_barrier
	buffer_gl0_inv
	v_cmpx_gt_u32_e32 32, v0
	s_cbranch_execz .LBB6_12
; %bb.11:
	ds_load_2addr_b64 v[4:7], v3 offset1:32
	s_waitcnt lgkmcnt(0)
	v_add_co_u32 v1, vcc_lo, v6, v4
	v_add_co_ci_u32_e32 v2, vcc_lo, v7, v5, vcc_lo
	ds_store_b64 v3, v[1:2]
.LBB6_12:
	s_or_b32 exec_lo, exec_lo, s0
	s_delay_alu instid0(SALU_CYCLE_1)
	s_mov_b32 s0, exec_lo
	s_waitcnt lgkmcnt(0)
	s_barrier
	buffer_gl0_inv
	v_cmpx_gt_u32_e32 16, v0
	s_cbranch_execz .LBB6_14
; %bb.13:
	ds_load_2addr_b64 v[4:7], v3 offset1:16
	s_waitcnt lgkmcnt(0)
	v_add_co_u32 v1, vcc_lo, v6, v4
	v_add_co_ci_u32_e32 v2, vcc_lo, v7, v5, vcc_lo
	ds_store_b64 v3, v[1:2]
.LBB6_14:
	s_or_b32 exec_lo, exec_lo, s0
	s_delay_alu instid0(SALU_CYCLE_1)
	s_mov_b32 s0, exec_lo
	s_waitcnt lgkmcnt(0)
	;; [unrolled: 15-line block ×4, first 2 shown]
	s_barrier
	buffer_gl0_inv
	v_cmpx_gt_u32_e32 2, v0
	s_cbranch_execz .LBB6_20
; %bb.19:
	ds_load_2addr_b64 v[4:7], v3 offset1:2
	s_waitcnt lgkmcnt(0)
	v_add_co_u32 v1, vcc_lo, v6, v4
	v_add_co_ci_u32_e32 v2, vcc_lo, v7, v5, vcc_lo
	ds_store_b64 v3, v[1:2]
.LBB6_20:
	s_or_b32 exec_lo, exec_lo, s0
	v_cmp_eq_u32_e32 vcc_lo, 0, v0
	s_waitcnt lgkmcnt(0)
	s_barrier
	buffer_gl0_inv
	s_and_saveexec_b32 s1, vcc_lo
	s_cbranch_execz .LBB6_22
; %bb.21:
	v_mov_b32_e32 v4, 0
	ds_load_b128 v[0:3], v4
	s_waitcnt lgkmcnt(0)
	v_add_co_u32 v0, s0, v2, v0
	s_delay_alu instid0(VALU_DEP_1)
	v_add_co_ci_u32_e64 v1, s0, v3, v1, s0
	ds_store_b64 v4, v[0:1]
.LBB6_22:
	s_or_b32 exec_lo, exec_lo, s1
	s_waitcnt lgkmcnt(0)
	s_barrier
	buffer_gl0_inv
	s_and_saveexec_b32 s0, vcc_lo
	s_cbranch_execz .LBB6_26
; %bb.23:
	v_mov_b32_e32 v4, 0
	s_mov_b32 s1, exec_lo
	s_mov_b32 s0, exec_lo
	v_mbcnt_lo_u32_b32 v5, s1, 0
                                        ; implicit-def: $vgpr2_vgpr3
	ds_load_b64 v[0:1], v4
	v_cmpx_eq_u32_e32 0, v5
	s_cbranch_execz .LBB6_25
; %bb.24:
	s_bcnt1_i32_b32 s1, s1
	s_waitcnt lgkmcnt(0)
	v_mul_lo_u32 v3, v1, s1
	v_mul_hi_u32 v6, v0, s1
	v_mul_lo_u32 v2, v0, s1
	s_delay_alu instid0(VALU_DEP_2)
	v_add_nc_u32_e32 v3, v6, v3
	global_atomic_add_u64 v[2:3], v4, v[2:3], s[2:3] glc
.LBB6_25:
	s_or_b32 exec_lo, exec_lo, s0
	s_waitcnt vmcnt(0)
	v_readfirstlane_b32 s1, v3
	v_readfirstlane_b32 s0, v2
	s_waitcnt lgkmcnt(0)
	s_delay_alu instid0(VALU_DEP_1) | instskip(NEXT) | instid1(VALU_DEP_1)
	v_mad_u64_u32 v[2:3], null, v0, v5, s[0:1]
	v_mov_b32_e32 v0, v3
	s_delay_alu instid0(VALU_DEP_1) | instskip(NEXT) | instid1(VALU_DEP_1)
	v_mad_u64_u32 v[6:7], null, v1, v5, v[0:1]
	v_mov_b32_e32 v3, v6
	ds_store_b64 v4, v[2:3]
.LBB6_26:
	s_endpgm
	.section	.rodata,"a",@progbits
	.p2align	6, 0x0
	.amdhsa_kernel _ZN9rocsparseL20copy_iarray_mix_safeILj1024EliEEvmPT0_mPKT1_mPm
		.amdhsa_group_segment_fixed_size 8192
		.amdhsa_private_segment_fixed_size 0
		.amdhsa_kernarg_size 48
		.amdhsa_user_sgpr_count 15
		.amdhsa_user_sgpr_dispatch_ptr 0
		.amdhsa_user_sgpr_queue_ptr 0
		.amdhsa_user_sgpr_kernarg_segment_ptr 1
		.amdhsa_user_sgpr_dispatch_id 0
		.amdhsa_user_sgpr_private_segment_size 0
		.amdhsa_wavefront_size32 1
		.amdhsa_uses_dynamic_stack 0
		.amdhsa_enable_private_segment 0
		.amdhsa_system_sgpr_workgroup_id_x 1
		.amdhsa_system_sgpr_workgroup_id_y 0
		.amdhsa_system_sgpr_workgroup_id_z 0
		.amdhsa_system_sgpr_workgroup_info 0
		.amdhsa_system_vgpr_workitem_id 0
		.amdhsa_next_free_vgpr 8
		.amdhsa_next_free_sgpr 16
		.amdhsa_reserve_vcc 1
		.amdhsa_float_round_mode_32 0
		.amdhsa_float_round_mode_16_64 0
		.amdhsa_float_denorm_mode_32 3
		.amdhsa_float_denorm_mode_16_64 3
		.amdhsa_dx10_clamp 1
		.amdhsa_ieee_mode 1
		.amdhsa_fp16_overflow 0
		.amdhsa_workgroup_processor_mode 1
		.amdhsa_memory_ordered 1
		.amdhsa_forward_progress 0
		.amdhsa_shared_vgpr_count 0
		.amdhsa_exception_fp_ieee_invalid_op 0
		.amdhsa_exception_fp_denorm_src 0
		.amdhsa_exception_fp_ieee_div_zero 0
		.amdhsa_exception_fp_ieee_overflow 0
		.amdhsa_exception_fp_ieee_underflow 0
		.amdhsa_exception_fp_ieee_inexact 0
		.amdhsa_exception_int_div_zero 0
	.end_amdhsa_kernel
	.section	.text._ZN9rocsparseL20copy_iarray_mix_safeILj1024EliEEvmPT0_mPKT1_mPm,"axG",@progbits,_ZN9rocsparseL20copy_iarray_mix_safeILj1024EliEEvmPT0_mPKT1_mPm,comdat
.Lfunc_end6:
	.size	_ZN9rocsparseL20copy_iarray_mix_safeILj1024EliEEvmPT0_mPKT1_mPm, .Lfunc_end6-_ZN9rocsparseL20copy_iarray_mix_safeILj1024EliEEvmPT0_mPKT1_mPm
                                        ; -- End function
	.section	.AMDGPU.csdata,"",@progbits
; Kernel info:
; codeLenInByte = 1068
; NumSgprs: 18
; NumVgprs: 8
; ScratchSize: 0
; MemoryBound: 0
; FloatMode: 240
; IeeeMode: 1
; LDSByteSize: 8192 bytes/workgroup (compile time only)
; SGPRBlocks: 2
; VGPRBlocks: 0
; NumSGPRsForWavesPerEU: 18
; NumVGPRsForWavesPerEU: 8
; Occupancy: 16
; WaveLimiterHint : 0
; COMPUTE_PGM_RSRC2:SCRATCH_EN: 0
; COMPUTE_PGM_RSRC2:USER_SGPR: 15
; COMPUTE_PGM_RSRC2:TRAP_HANDLER: 0
; COMPUTE_PGM_RSRC2:TGID_X_EN: 1
; COMPUTE_PGM_RSRC2:TGID_Y_EN: 0
; COMPUTE_PGM_RSRC2:TGID_Z_EN: 0
; COMPUTE_PGM_RSRC2:TIDIG_COMP_CNT: 0
	.section	.text._ZN9rocsparseL20copy_iarray_mix_safeILj1024EllEEvmPT0_mPKT1_mPm,"axG",@progbits,_ZN9rocsparseL20copy_iarray_mix_safeILj1024EllEEvmPT0_mPKT1_mPm,comdat
	.globl	_ZN9rocsparseL20copy_iarray_mix_safeILj1024EllEEvmPT0_mPKT1_mPm ; -- Begin function _ZN9rocsparseL20copy_iarray_mix_safeILj1024EllEEvmPT0_mPKT1_mPm
	.p2align	8
	.type	_ZN9rocsparseL20copy_iarray_mix_safeILj1024EllEEvmPT0_mPKT1_mPm,@function
_ZN9rocsparseL20copy_iarray_mix_safeILj1024EllEEvmPT0_mPKT1_mPm: ; @_ZN9rocsparseL20copy_iarray_mix_safeILj1024EllEEvmPT0_mPKT1_mPm
; %bb.0:
	s_clause 0x1
	s_load_b256 s[4:11], s[0:1], 0x0
	s_load_b128 s[0:3], s[0:1], 0x20
	v_lshl_or_b32 v1, s15, 10, v0
	v_mov_b32_e32 v2, 0
	s_waitcnt lgkmcnt(0)
	s_delay_alu instid0(VALU_DEP_1)
	v_cmp_gt_u64_e32 vcc_lo, s[4:5], v[1:2]
	s_and_saveexec_b32 s4, vcc_lo
	s_cbranch_execz .LBB7_2
; %bb.1:
	v_mad_u64_u32 v[3:4], null, v1, s0, 0
	s_delay_alu instid0(VALU_DEP_1) | instskip(NEXT) | instid1(VALU_DEP_1)
	v_mad_u64_u32 v[5:6], null, v1, s1, v[4:5]
	v_mov_b32_e32 v4, v5
	v_mad_u64_u32 v[5:6], null, v1, s8, 0
	s_delay_alu instid0(VALU_DEP_2) | instskip(NEXT) | instid1(VALU_DEP_2)
	v_lshlrev_b64 v[3:4], 3, v[3:4]
	v_mad_u64_u32 v[7:8], null, v1, s9, v[6:7]
	s_delay_alu instid0(VALU_DEP_2) | instskip(NEXT) | instid1(VALU_DEP_3)
	v_add_co_u32 v3, vcc_lo, s10, v3
	v_add_co_ci_u32_e32 v4, vcc_lo, s11, v4, vcc_lo
	s_delay_alu instid0(VALU_DEP_3) | instskip(SKIP_2) | instid1(VALU_DEP_1)
	v_mov_b32_e32 v6, v7
	global_load_b64 v[3:4], v[3:4], off
	v_lshlrev_b64 v[5:6], 3, v[5:6]
	v_add_co_u32 v5, vcc_lo, s6, v5
	s_delay_alu instid0(VALU_DEP_2)
	v_add_co_ci_u32_e32 v6, vcc_lo, s7, v6, vcc_lo
	s_waitcnt vmcnt(0)
	global_store_b64 v[5:6], v[3:4], off
.LBB7_2:
	s_or_b32 exec_lo, exec_lo, s4
	v_lshlrev_b32_e32 v3, 3, v0
	v_mov_b32_e32 v1, v2
	s_mov_b32 s0, exec_lo
	ds_store_b64 v3, v[1:2]
	s_waitcnt lgkmcnt(0)
	s_waitcnt_vscnt null, 0x0
	s_barrier
	buffer_gl0_inv
	v_cmpx_gt_u32_e32 0x200, v0
	s_cbranch_execz .LBB7_4
; %bb.3:
	ds_load_2addr_stride64_b64 v[4:7], v3 offset1:8
	s_waitcnt lgkmcnt(0)
	v_add_co_u32 v1, vcc_lo, v6, v4
	v_add_co_ci_u32_e32 v2, vcc_lo, v7, v5, vcc_lo
	ds_store_b64 v3, v[1:2]
.LBB7_4:
	s_or_b32 exec_lo, exec_lo, s0
	s_delay_alu instid0(SALU_CYCLE_1)
	s_mov_b32 s0, exec_lo
	s_waitcnt lgkmcnt(0)
	s_barrier
	buffer_gl0_inv
	v_cmpx_gt_u32_e32 0x100, v0
	s_cbranch_execz .LBB7_6
; %bb.5:
	ds_load_2addr_stride64_b64 v[4:7], v3 offset1:4
	s_waitcnt lgkmcnt(0)
	v_add_co_u32 v1, vcc_lo, v6, v4
	v_add_co_ci_u32_e32 v2, vcc_lo, v7, v5, vcc_lo
	ds_store_b64 v3, v[1:2]
.LBB7_6:
	s_or_b32 exec_lo, exec_lo, s0
	s_delay_alu instid0(SALU_CYCLE_1)
	s_mov_b32 s0, exec_lo
	s_waitcnt lgkmcnt(0)
	;; [unrolled: 15-line block ×4, first 2 shown]
	s_barrier
	buffer_gl0_inv
	v_cmpx_gt_u32_e32 32, v0
	s_cbranch_execz .LBB7_12
; %bb.11:
	ds_load_2addr_b64 v[4:7], v3 offset1:32
	s_waitcnt lgkmcnt(0)
	v_add_co_u32 v1, vcc_lo, v6, v4
	v_add_co_ci_u32_e32 v2, vcc_lo, v7, v5, vcc_lo
	ds_store_b64 v3, v[1:2]
.LBB7_12:
	s_or_b32 exec_lo, exec_lo, s0
	s_delay_alu instid0(SALU_CYCLE_1)
	s_mov_b32 s0, exec_lo
	s_waitcnt lgkmcnt(0)
	s_barrier
	buffer_gl0_inv
	v_cmpx_gt_u32_e32 16, v0
	s_cbranch_execz .LBB7_14
; %bb.13:
	ds_load_2addr_b64 v[4:7], v3 offset1:16
	s_waitcnt lgkmcnt(0)
	v_add_co_u32 v1, vcc_lo, v6, v4
	v_add_co_ci_u32_e32 v2, vcc_lo, v7, v5, vcc_lo
	ds_store_b64 v3, v[1:2]
.LBB7_14:
	s_or_b32 exec_lo, exec_lo, s0
	s_delay_alu instid0(SALU_CYCLE_1)
	s_mov_b32 s0, exec_lo
	s_waitcnt lgkmcnt(0)
	;; [unrolled: 15-line block ×4, first 2 shown]
	s_barrier
	buffer_gl0_inv
	v_cmpx_gt_u32_e32 2, v0
	s_cbranch_execz .LBB7_20
; %bb.19:
	ds_load_2addr_b64 v[4:7], v3 offset1:2
	s_waitcnt lgkmcnt(0)
	v_add_co_u32 v1, vcc_lo, v6, v4
	v_add_co_ci_u32_e32 v2, vcc_lo, v7, v5, vcc_lo
	ds_store_b64 v3, v[1:2]
.LBB7_20:
	s_or_b32 exec_lo, exec_lo, s0
	v_cmp_eq_u32_e32 vcc_lo, 0, v0
	s_waitcnt lgkmcnt(0)
	s_barrier
	buffer_gl0_inv
	s_and_saveexec_b32 s1, vcc_lo
	s_cbranch_execz .LBB7_22
; %bb.21:
	v_mov_b32_e32 v4, 0
	ds_load_b128 v[0:3], v4
	s_waitcnt lgkmcnt(0)
	v_add_co_u32 v0, s0, v2, v0
	s_delay_alu instid0(VALU_DEP_1)
	v_add_co_ci_u32_e64 v1, s0, v3, v1, s0
	ds_store_b64 v4, v[0:1]
.LBB7_22:
	s_or_b32 exec_lo, exec_lo, s1
	s_waitcnt lgkmcnt(0)
	s_barrier
	buffer_gl0_inv
	s_and_saveexec_b32 s0, vcc_lo
	s_cbranch_execz .LBB7_26
; %bb.23:
	v_mov_b32_e32 v4, 0
	s_mov_b32 s1, exec_lo
	s_mov_b32 s0, exec_lo
	v_mbcnt_lo_u32_b32 v5, s1, 0
                                        ; implicit-def: $vgpr2_vgpr3
	ds_load_b64 v[0:1], v4
	v_cmpx_eq_u32_e32 0, v5
	s_cbranch_execz .LBB7_25
; %bb.24:
	s_bcnt1_i32_b32 s1, s1
	s_waitcnt lgkmcnt(0)
	v_mul_lo_u32 v3, v1, s1
	v_mul_hi_u32 v6, v0, s1
	v_mul_lo_u32 v2, v0, s1
	s_delay_alu instid0(VALU_DEP_2)
	v_add_nc_u32_e32 v3, v6, v3
	global_atomic_add_u64 v[2:3], v4, v[2:3], s[2:3] glc
.LBB7_25:
	s_or_b32 exec_lo, exec_lo, s0
	s_waitcnt vmcnt(0)
	v_readfirstlane_b32 s1, v3
	v_readfirstlane_b32 s0, v2
	s_waitcnt lgkmcnt(0)
	s_delay_alu instid0(VALU_DEP_1) | instskip(NEXT) | instid1(VALU_DEP_1)
	v_mad_u64_u32 v[2:3], null, v0, v5, s[0:1]
	v_mov_b32_e32 v0, v3
	s_delay_alu instid0(VALU_DEP_1) | instskip(NEXT) | instid1(VALU_DEP_1)
	v_mad_u64_u32 v[6:7], null, v1, v5, v[0:1]
	v_mov_b32_e32 v3, v6
	ds_store_b64 v4, v[2:3]
.LBB7_26:
	s_endpgm
	.section	.rodata,"a",@progbits
	.p2align	6, 0x0
	.amdhsa_kernel _ZN9rocsparseL20copy_iarray_mix_safeILj1024EllEEvmPT0_mPKT1_mPm
		.amdhsa_group_segment_fixed_size 8192
		.amdhsa_private_segment_fixed_size 0
		.amdhsa_kernarg_size 48
		.amdhsa_user_sgpr_count 15
		.amdhsa_user_sgpr_dispatch_ptr 0
		.amdhsa_user_sgpr_queue_ptr 0
		.amdhsa_user_sgpr_kernarg_segment_ptr 1
		.amdhsa_user_sgpr_dispatch_id 0
		.amdhsa_user_sgpr_private_segment_size 0
		.amdhsa_wavefront_size32 1
		.amdhsa_uses_dynamic_stack 0
		.amdhsa_enable_private_segment 0
		.amdhsa_system_sgpr_workgroup_id_x 1
		.amdhsa_system_sgpr_workgroup_id_y 0
		.amdhsa_system_sgpr_workgroup_id_z 0
		.amdhsa_system_sgpr_workgroup_info 0
		.amdhsa_system_vgpr_workitem_id 0
		.amdhsa_next_free_vgpr 9
		.amdhsa_next_free_sgpr 16
		.amdhsa_reserve_vcc 1
		.amdhsa_float_round_mode_32 0
		.amdhsa_float_round_mode_16_64 0
		.amdhsa_float_denorm_mode_32 3
		.amdhsa_float_denorm_mode_16_64 3
		.amdhsa_dx10_clamp 1
		.amdhsa_ieee_mode 1
		.amdhsa_fp16_overflow 0
		.amdhsa_workgroup_processor_mode 1
		.amdhsa_memory_ordered 1
		.amdhsa_forward_progress 0
		.amdhsa_shared_vgpr_count 0
		.amdhsa_exception_fp_ieee_invalid_op 0
		.amdhsa_exception_fp_denorm_src 0
		.amdhsa_exception_fp_ieee_div_zero 0
		.amdhsa_exception_fp_ieee_overflow 0
		.amdhsa_exception_fp_ieee_underflow 0
		.amdhsa_exception_fp_ieee_inexact 0
		.amdhsa_exception_int_div_zero 0
	.end_amdhsa_kernel
	.section	.text._ZN9rocsparseL20copy_iarray_mix_safeILj1024EllEEvmPT0_mPKT1_mPm,"axG",@progbits,_ZN9rocsparseL20copy_iarray_mix_safeILj1024EllEEvmPT0_mPKT1_mPm,comdat
.Lfunc_end7:
	.size	_ZN9rocsparseL20copy_iarray_mix_safeILj1024EllEEvmPT0_mPKT1_mPm, .Lfunc_end7-_ZN9rocsparseL20copy_iarray_mix_safeILj1024EllEEvmPT0_mPKT1_mPm
                                        ; -- End function
	.section	.AMDGPU.csdata,"",@progbits
; Kernel info:
; codeLenInByte = 1064
; NumSgprs: 18
; NumVgprs: 9
; ScratchSize: 0
; MemoryBound: 0
; FloatMode: 240
; IeeeMode: 1
; LDSByteSize: 8192 bytes/workgroup (compile time only)
; SGPRBlocks: 2
; VGPRBlocks: 1
; NumSGPRsForWavesPerEU: 18
; NumVGPRsForWavesPerEU: 9
; Occupancy: 16
; WaveLimiterHint : 0
; COMPUTE_PGM_RSRC2:SCRATCH_EN: 0
; COMPUTE_PGM_RSRC2:USER_SGPR: 15
; COMPUTE_PGM_RSRC2:TRAP_HANDLER: 0
; COMPUTE_PGM_RSRC2:TGID_X_EN: 1
; COMPUTE_PGM_RSRC2:TGID_Y_EN: 0
; COMPUTE_PGM_RSRC2:TGID_Z_EN: 0
; COMPUTE_PGM_RSRC2:TIDIG_COMP_CNT: 0
	.section	.text._ZN9rocsparse29copy_farray_mix_safe_kernel_tIaavE3runILj1024EEEvmPaPKaS3_,"axG",@progbits,_ZN9rocsparse29copy_farray_mix_safe_kernel_tIaavE3runILj1024EEEvmPaPKaS3_,comdat
	.protected	_ZN9rocsparse29copy_farray_mix_safe_kernel_tIaavE3runILj1024EEEvmPaPKaS3_ ; -- Begin function _ZN9rocsparse29copy_farray_mix_safe_kernel_tIaavE3runILj1024EEEvmPaPKaS3_
	.globl	_ZN9rocsparse29copy_farray_mix_safe_kernel_tIaavE3runILj1024EEEvmPaPKaS3_
	.p2align	8
	.type	_ZN9rocsparse29copy_farray_mix_safe_kernel_tIaavE3runILj1024EEEvmPaPKaS3_,@function
_ZN9rocsparse29copy_farray_mix_safe_kernel_tIaavE3runILj1024EEEvmPaPKaS3_: ; @_ZN9rocsparse29copy_farray_mix_safe_kernel_tIaavE3runILj1024EEEvmPaPKaS3_
; %bb.0:
	s_load_b128 s[4:7], s[0:1], 0x0
	v_lshl_or_b32 v0, s15, 10, v0
	v_mov_b32_e32 v1, 0
	s_mov_b32 s2, exec_lo
	s_waitcnt lgkmcnt(0)
	s_delay_alu instid0(VALU_DEP_1)
	v_cmpx_gt_u64_e64 s[4:5], v[0:1]
	s_cbranch_execz .LBB8_2
; %bb.1:
	s_load_b64 s[0:1], s[0:1], 0x10
	s_waitcnt lgkmcnt(0)
	v_add_co_u32 v1, s0, s0, v0
	s_delay_alu instid0(VALU_DEP_1)
	v_add_co_ci_u32_e64 v2, null, s1, 0, s0
	v_add_co_u32 v0, s0, s6, v0
	global_load_u8 v2, v[1:2], off
	v_add_co_ci_u32_e64 v1, null, s7, 0, s0
	s_waitcnt vmcnt(0)
	global_store_b8 v[0:1], v2, off
.LBB8_2:
	s_nop 0
	s_sendmsg sendmsg(MSG_DEALLOC_VGPRS)
	s_endpgm
	.section	.rodata,"a",@progbits
	.p2align	6, 0x0
	.amdhsa_kernel _ZN9rocsparse29copy_farray_mix_safe_kernel_tIaavE3runILj1024EEEvmPaPKaS3_
		.amdhsa_group_segment_fixed_size 0
		.amdhsa_private_segment_fixed_size 0
		.amdhsa_kernarg_size 32
		.amdhsa_user_sgpr_count 15
		.amdhsa_user_sgpr_dispatch_ptr 0
		.amdhsa_user_sgpr_queue_ptr 0
		.amdhsa_user_sgpr_kernarg_segment_ptr 1
		.amdhsa_user_sgpr_dispatch_id 0
		.amdhsa_user_sgpr_private_segment_size 0
		.amdhsa_wavefront_size32 1
		.amdhsa_uses_dynamic_stack 0
		.amdhsa_enable_private_segment 0
		.amdhsa_system_sgpr_workgroup_id_x 1
		.amdhsa_system_sgpr_workgroup_id_y 0
		.amdhsa_system_sgpr_workgroup_id_z 0
		.amdhsa_system_sgpr_workgroup_info 0
		.amdhsa_system_vgpr_workitem_id 0
		.amdhsa_next_free_vgpr 3
		.amdhsa_next_free_sgpr 16
		.amdhsa_reserve_vcc 0
		.amdhsa_float_round_mode_32 0
		.amdhsa_float_round_mode_16_64 0
		.amdhsa_float_denorm_mode_32 3
		.amdhsa_float_denorm_mode_16_64 3
		.amdhsa_dx10_clamp 1
		.amdhsa_ieee_mode 1
		.amdhsa_fp16_overflow 0
		.amdhsa_workgroup_processor_mode 1
		.amdhsa_memory_ordered 1
		.amdhsa_forward_progress 0
		.amdhsa_shared_vgpr_count 0
		.amdhsa_exception_fp_ieee_invalid_op 0
		.amdhsa_exception_fp_denorm_src 0
		.amdhsa_exception_fp_ieee_div_zero 0
		.amdhsa_exception_fp_ieee_overflow 0
		.amdhsa_exception_fp_ieee_underflow 0
		.amdhsa_exception_fp_ieee_inexact 0
		.amdhsa_exception_int_div_zero 0
	.end_amdhsa_kernel
	.section	.text._ZN9rocsparse29copy_farray_mix_safe_kernel_tIaavE3runILj1024EEEvmPaPKaS3_,"axG",@progbits,_ZN9rocsparse29copy_farray_mix_safe_kernel_tIaavE3runILj1024EEEvmPaPKaS3_,comdat
.Lfunc_end8:
	.size	_ZN9rocsparse29copy_farray_mix_safe_kernel_tIaavE3runILj1024EEEvmPaPKaS3_, .Lfunc_end8-_ZN9rocsparse29copy_farray_mix_safe_kernel_tIaavE3runILj1024EEEvmPaPKaS3_
                                        ; -- End function
	.section	.AMDGPU.csdata,"",@progbits
; Kernel info:
; codeLenInByte = 124
; NumSgprs: 16
; NumVgprs: 3
; ScratchSize: 0
; MemoryBound: 0
; FloatMode: 240
; IeeeMode: 1
; LDSByteSize: 0 bytes/workgroup (compile time only)
; SGPRBlocks: 1
; VGPRBlocks: 0
; NumSGPRsForWavesPerEU: 16
; NumVGPRsForWavesPerEU: 3
; Occupancy: 16
; WaveLimiterHint : 0
; COMPUTE_PGM_RSRC2:SCRATCH_EN: 0
; COMPUTE_PGM_RSRC2:USER_SGPR: 15
; COMPUTE_PGM_RSRC2:TRAP_HANDLER: 0
; COMPUTE_PGM_RSRC2:TGID_X_EN: 1
; COMPUTE_PGM_RSRC2:TGID_Y_EN: 0
; COMPUTE_PGM_RSRC2:TGID_Z_EN: 0
; COMPUTE_PGM_RSRC2:TIDIG_COMP_CNT: 0
	.section	.text._ZN9rocsparse29copy_farray_mix_safe_kernel_tIahvE3runILj1024EEEvmPaPKhPh,"axG",@progbits,_ZN9rocsparse29copy_farray_mix_safe_kernel_tIahvE3runILj1024EEEvmPaPKhPh,comdat
	.protected	_ZN9rocsparse29copy_farray_mix_safe_kernel_tIahvE3runILj1024EEEvmPaPKhPh ; -- Begin function _ZN9rocsparse29copy_farray_mix_safe_kernel_tIahvE3runILj1024EEEvmPaPKhPh
	.globl	_ZN9rocsparse29copy_farray_mix_safe_kernel_tIahvE3runILj1024EEEvmPaPKhPh
	.p2align	8
	.type	_ZN9rocsparse29copy_farray_mix_safe_kernel_tIahvE3runILj1024EEEvmPaPKhPh,@function
_ZN9rocsparse29copy_farray_mix_safe_kernel_tIahvE3runILj1024EEEvmPaPKhPh: ; @_ZN9rocsparse29copy_farray_mix_safe_kernel_tIahvE3runILj1024EEEvmPaPKhPh
; %bb.0:
	s_endpgm
	.section	.rodata,"a",@progbits
	.p2align	6, 0x0
	.amdhsa_kernel _ZN9rocsparse29copy_farray_mix_safe_kernel_tIahvE3runILj1024EEEvmPaPKhPh
		.amdhsa_group_segment_fixed_size 0
		.amdhsa_private_segment_fixed_size 0
		.amdhsa_kernarg_size 32
		.amdhsa_user_sgpr_count 15
		.amdhsa_user_sgpr_dispatch_ptr 0
		.amdhsa_user_sgpr_queue_ptr 0
		.amdhsa_user_sgpr_kernarg_segment_ptr 1
		.amdhsa_user_sgpr_dispatch_id 0
		.amdhsa_user_sgpr_private_segment_size 0
		.amdhsa_wavefront_size32 1
		.amdhsa_uses_dynamic_stack 0
		.amdhsa_enable_private_segment 0
		.amdhsa_system_sgpr_workgroup_id_x 1
		.amdhsa_system_sgpr_workgroup_id_y 0
		.amdhsa_system_sgpr_workgroup_id_z 0
		.amdhsa_system_sgpr_workgroup_info 0
		.amdhsa_system_vgpr_workitem_id 0
		.amdhsa_next_free_vgpr 1
		.amdhsa_next_free_sgpr 1
		.amdhsa_reserve_vcc 0
		.amdhsa_float_round_mode_32 0
		.amdhsa_float_round_mode_16_64 0
		.amdhsa_float_denorm_mode_32 3
		.amdhsa_float_denorm_mode_16_64 3
		.amdhsa_dx10_clamp 1
		.amdhsa_ieee_mode 1
		.amdhsa_fp16_overflow 0
		.amdhsa_workgroup_processor_mode 1
		.amdhsa_memory_ordered 1
		.amdhsa_forward_progress 0
		.amdhsa_shared_vgpr_count 0
		.amdhsa_exception_fp_ieee_invalid_op 0
		.amdhsa_exception_fp_denorm_src 0
		.amdhsa_exception_fp_ieee_div_zero 0
		.amdhsa_exception_fp_ieee_overflow 0
		.amdhsa_exception_fp_ieee_underflow 0
		.amdhsa_exception_fp_ieee_inexact 0
		.amdhsa_exception_int_div_zero 0
	.end_amdhsa_kernel
	.section	.text._ZN9rocsparse29copy_farray_mix_safe_kernel_tIahvE3runILj1024EEEvmPaPKhPh,"axG",@progbits,_ZN9rocsparse29copy_farray_mix_safe_kernel_tIahvE3runILj1024EEEvmPaPKhPh,comdat
.Lfunc_end9:
	.size	_ZN9rocsparse29copy_farray_mix_safe_kernel_tIahvE3runILj1024EEEvmPaPKhPh, .Lfunc_end9-_ZN9rocsparse29copy_farray_mix_safe_kernel_tIahvE3runILj1024EEEvmPaPKhPh
                                        ; -- End function
	.section	.AMDGPU.csdata,"",@progbits
; Kernel info:
; codeLenInByte = 4
; NumSgprs: 0
; NumVgprs: 0
; ScratchSize: 0
; MemoryBound: 0
; FloatMode: 240
; IeeeMode: 1
; LDSByteSize: 0 bytes/workgroup (compile time only)
; SGPRBlocks: 0
; VGPRBlocks: 0
; NumSGPRsForWavesPerEU: 1
; NumVGPRsForWavesPerEU: 1
; Occupancy: 16
; WaveLimiterHint : 0
; COMPUTE_PGM_RSRC2:SCRATCH_EN: 0
; COMPUTE_PGM_RSRC2:USER_SGPR: 15
; COMPUTE_PGM_RSRC2:TRAP_HANDLER: 0
; COMPUTE_PGM_RSRC2:TGID_X_EN: 1
; COMPUTE_PGM_RSRC2:TGID_Y_EN: 0
; COMPUTE_PGM_RSRC2:TGID_Z_EN: 0
; COMPUTE_PGM_RSRC2:TIDIG_COMP_CNT: 0
	.section	.text._ZN9rocsparse29copy_farray_mix_safe_kernel_tIaivE3runILj1024EEEvmPaPKiPi,"axG",@progbits,_ZN9rocsparse29copy_farray_mix_safe_kernel_tIaivE3runILj1024EEEvmPaPKiPi,comdat
	.protected	_ZN9rocsparse29copy_farray_mix_safe_kernel_tIaivE3runILj1024EEEvmPaPKiPi ; -- Begin function _ZN9rocsparse29copy_farray_mix_safe_kernel_tIaivE3runILj1024EEEvmPaPKiPi
	.globl	_ZN9rocsparse29copy_farray_mix_safe_kernel_tIaivE3runILj1024EEEvmPaPKiPi
	.p2align	8
	.type	_ZN9rocsparse29copy_farray_mix_safe_kernel_tIaivE3runILj1024EEEvmPaPKiPi,@function
_ZN9rocsparse29copy_farray_mix_safe_kernel_tIaivE3runILj1024EEEvmPaPKiPi: ; @_ZN9rocsparse29copy_farray_mix_safe_kernel_tIaivE3runILj1024EEEvmPaPKiPi
; %bb.0:
	s_endpgm
	.section	.rodata,"a",@progbits
	.p2align	6, 0x0
	.amdhsa_kernel _ZN9rocsparse29copy_farray_mix_safe_kernel_tIaivE3runILj1024EEEvmPaPKiPi
		.amdhsa_group_segment_fixed_size 0
		.amdhsa_private_segment_fixed_size 0
		.amdhsa_kernarg_size 32
		.amdhsa_user_sgpr_count 15
		.amdhsa_user_sgpr_dispatch_ptr 0
		.amdhsa_user_sgpr_queue_ptr 0
		.amdhsa_user_sgpr_kernarg_segment_ptr 1
		.amdhsa_user_sgpr_dispatch_id 0
		.amdhsa_user_sgpr_private_segment_size 0
		.amdhsa_wavefront_size32 1
		.amdhsa_uses_dynamic_stack 0
		.amdhsa_enable_private_segment 0
		.amdhsa_system_sgpr_workgroup_id_x 1
		.amdhsa_system_sgpr_workgroup_id_y 0
		.amdhsa_system_sgpr_workgroup_id_z 0
		.amdhsa_system_sgpr_workgroup_info 0
		.amdhsa_system_vgpr_workitem_id 0
		.amdhsa_next_free_vgpr 1
		.amdhsa_next_free_sgpr 1
		.amdhsa_reserve_vcc 0
		.amdhsa_float_round_mode_32 0
		.amdhsa_float_round_mode_16_64 0
		.amdhsa_float_denorm_mode_32 3
		.amdhsa_float_denorm_mode_16_64 3
		.amdhsa_dx10_clamp 1
		.amdhsa_ieee_mode 1
		.amdhsa_fp16_overflow 0
		.amdhsa_workgroup_processor_mode 1
		.amdhsa_memory_ordered 1
		.amdhsa_forward_progress 0
		.amdhsa_shared_vgpr_count 0
		.amdhsa_exception_fp_ieee_invalid_op 0
		.amdhsa_exception_fp_denorm_src 0
		.amdhsa_exception_fp_ieee_div_zero 0
		.amdhsa_exception_fp_ieee_overflow 0
		.amdhsa_exception_fp_ieee_underflow 0
		.amdhsa_exception_fp_ieee_inexact 0
		.amdhsa_exception_int_div_zero 0
	.end_amdhsa_kernel
	.section	.text._ZN9rocsparse29copy_farray_mix_safe_kernel_tIaivE3runILj1024EEEvmPaPKiPi,"axG",@progbits,_ZN9rocsparse29copy_farray_mix_safe_kernel_tIaivE3runILj1024EEEvmPaPKiPi,comdat
.Lfunc_end10:
	.size	_ZN9rocsparse29copy_farray_mix_safe_kernel_tIaivE3runILj1024EEEvmPaPKiPi, .Lfunc_end10-_ZN9rocsparse29copy_farray_mix_safe_kernel_tIaivE3runILj1024EEEvmPaPKiPi
                                        ; -- End function
	.section	.AMDGPU.csdata,"",@progbits
; Kernel info:
; codeLenInByte = 4
; NumSgprs: 0
; NumVgprs: 0
; ScratchSize: 0
; MemoryBound: 0
; FloatMode: 240
; IeeeMode: 1
; LDSByteSize: 0 bytes/workgroup (compile time only)
; SGPRBlocks: 0
; VGPRBlocks: 0
; NumSGPRsForWavesPerEU: 1
; NumVGPRsForWavesPerEU: 1
; Occupancy: 16
; WaveLimiterHint : 0
; COMPUTE_PGM_RSRC2:SCRATCH_EN: 0
; COMPUTE_PGM_RSRC2:USER_SGPR: 15
; COMPUTE_PGM_RSRC2:TRAP_HANDLER: 0
; COMPUTE_PGM_RSRC2:TGID_X_EN: 1
; COMPUTE_PGM_RSRC2:TGID_Y_EN: 0
; COMPUTE_PGM_RSRC2:TGID_Z_EN: 0
; COMPUTE_PGM_RSRC2:TIDIG_COMP_CNT: 0
	.section	.text._ZN9rocsparse29copy_farray_mix_safe_kernel_tIajvE3runILj1024EEEvmPaPKjPj,"axG",@progbits,_ZN9rocsparse29copy_farray_mix_safe_kernel_tIajvE3runILj1024EEEvmPaPKjPj,comdat
	.protected	_ZN9rocsparse29copy_farray_mix_safe_kernel_tIajvE3runILj1024EEEvmPaPKjPj ; -- Begin function _ZN9rocsparse29copy_farray_mix_safe_kernel_tIajvE3runILj1024EEEvmPaPKjPj
	.globl	_ZN9rocsparse29copy_farray_mix_safe_kernel_tIajvE3runILj1024EEEvmPaPKjPj
	.p2align	8
	.type	_ZN9rocsparse29copy_farray_mix_safe_kernel_tIajvE3runILj1024EEEvmPaPKjPj,@function
_ZN9rocsparse29copy_farray_mix_safe_kernel_tIajvE3runILj1024EEEvmPaPKjPj: ; @_ZN9rocsparse29copy_farray_mix_safe_kernel_tIajvE3runILj1024EEEvmPaPKjPj
; %bb.0:
	s_endpgm
	.section	.rodata,"a",@progbits
	.p2align	6, 0x0
	.amdhsa_kernel _ZN9rocsparse29copy_farray_mix_safe_kernel_tIajvE3runILj1024EEEvmPaPKjPj
		.amdhsa_group_segment_fixed_size 0
		.amdhsa_private_segment_fixed_size 0
		.amdhsa_kernarg_size 32
		.amdhsa_user_sgpr_count 15
		.amdhsa_user_sgpr_dispatch_ptr 0
		.amdhsa_user_sgpr_queue_ptr 0
		.amdhsa_user_sgpr_kernarg_segment_ptr 1
		.amdhsa_user_sgpr_dispatch_id 0
		.amdhsa_user_sgpr_private_segment_size 0
		.amdhsa_wavefront_size32 1
		.amdhsa_uses_dynamic_stack 0
		.amdhsa_enable_private_segment 0
		.amdhsa_system_sgpr_workgroup_id_x 1
		.amdhsa_system_sgpr_workgroup_id_y 0
		.amdhsa_system_sgpr_workgroup_id_z 0
		.amdhsa_system_sgpr_workgroup_info 0
		.amdhsa_system_vgpr_workitem_id 0
		.amdhsa_next_free_vgpr 1
		.amdhsa_next_free_sgpr 1
		.amdhsa_reserve_vcc 0
		.amdhsa_float_round_mode_32 0
		.amdhsa_float_round_mode_16_64 0
		.amdhsa_float_denorm_mode_32 3
		.amdhsa_float_denorm_mode_16_64 3
		.amdhsa_dx10_clamp 1
		.amdhsa_ieee_mode 1
		.amdhsa_fp16_overflow 0
		.amdhsa_workgroup_processor_mode 1
		.amdhsa_memory_ordered 1
		.amdhsa_forward_progress 0
		.amdhsa_shared_vgpr_count 0
		.amdhsa_exception_fp_ieee_invalid_op 0
		.amdhsa_exception_fp_denorm_src 0
		.amdhsa_exception_fp_ieee_div_zero 0
		.amdhsa_exception_fp_ieee_overflow 0
		.amdhsa_exception_fp_ieee_underflow 0
		.amdhsa_exception_fp_ieee_inexact 0
		.amdhsa_exception_int_div_zero 0
	.end_amdhsa_kernel
	.section	.text._ZN9rocsparse29copy_farray_mix_safe_kernel_tIajvE3runILj1024EEEvmPaPKjPj,"axG",@progbits,_ZN9rocsparse29copy_farray_mix_safe_kernel_tIajvE3runILj1024EEEvmPaPKjPj,comdat
.Lfunc_end11:
	.size	_ZN9rocsparse29copy_farray_mix_safe_kernel_tIajvE3runILj1024EEEvmPaPKjPj, .Lfunc_end11-_ZN9rocsparse29copy_farray_mix_safe_kernel_tIajvE3runILj1024EEEvmPaPKjPj
                                        ; -- End function
	.section	.AMDGPU.csdata,"",@progbits
; Kernel info:
; codeLenInByte = 4
; NumSgprs: 0
; NumVgprs: 0
; ScratchSize: 0
; MemoryBound: 0
; FloatMode: 240
; IeeeMode: 1
; LDSByteSize: 0 bytes/workgroup (compile time only)
; SGPRBlocks: 0
; VGPRBlocks: 0
; NumSGPRsForWavesPerEU: 1
; NumVGPRsForWavesPerEU: 1
; Occupancy: 16
; WaveLimiterHint : 0
; COMPUTE_PGM_RSRC2:SCRATCH_EN: 0
; COMPUTE_PGM_RSRC2:USER_SGPR: 15
; COMPUTE_PGM_RSRC2:TRAP_HANDLER: 0
; COMPUTE_PGM_RSRC2:TGID_X_EN: 1
; COMPUTE_PGM_RSRC2:TGID_Y_EN: 0
; COMPUTE_PGM_RSRC2:TGID_Z_EN: 0
; COMPUTE_PGM_RSRC2:TIDIG_COMP_CNT: 0
	.section	.text._ZN9rocsparse29copy_farray_mix_safe_kernel_tIaDF16_vE3runILj1024EEEvmPaPKDF16_PDF16_,"axG",@progbits,_ZN9rocsparse29copy_farray_mix_safe_kernel_tIaDF16_vE3runILj1024EEEvmPaPKDF16_PDF16_,comdat
	.protected	_ZN9rocsparse29copy_farray_mix_safe_kernel_tIaDF16_vE3runILj1024EEEvmPaPKDF16_PDF16_ ; -- Begin function _ZN9rocsparse29copy_farray_mix_safe_kernel_tIaDF16_vE3runILj1024EEEvmPaPKDF16_PDF16_
	.globl	_ZN9rocsparse29copy_farray_mix_safe_kernel_tIaDF16_vE3runILj1024EEEvmPaPKDF16_PDF16_
	.p2align	8
	.type	_ZN9rocsparse29copy_farray_mix_safe_kernel_tIaDF16_vE3runILj1024EEEvmPaPKDF16_PDF16_,@function
_ZN9rocsparse29copy_farray_mix_safe_kernel_tIaDF16_vE3runILj1024EEEvmPaPKDF16_PDF16_: ; @_ZN9rocsparse29copy_farray_mix_safe_kernel_tIaDF16_vE3runILj1024EEEvmPaPKDF16_PDF16_
; %bb.0:
	s_endpgm
	.section	.rodata,"a",@progbits
	.p2align	6, 0x0
	.amdhsa_kernel _ZN9rocsparse29copy_farray_mix_safe_kernel_tIaDF16_vE3runILj1024EEEvmPaPKDF16_PDF16_
		.amdhsa_group_segment_fixed_size 0
		.amdhsa_private_segment_fixed_size 0
		.amdhsa_kernarg_size 32
		.amdhsa_user_sgpr_count 15
		.amdhsa_user_sgpr_dispatch_ptr 0
		.amdhsa_user_sgpr_queue_ptr 0
		.amdhsa_user_sgpr_kernarg_segment_ptr 1
		.amdhsa_user_sgpr_dispatch_id 0
		.amdhsa_user_sgpr_private_segment_size 0
		.amdhsa_wavefront_size32 1
		.amdhsa_uses_dynamic_stack 0
		.amdhsa_enable_private_segment 0
		.amdhsa_system_sgpr_workgroup_id_x 1
		.amdhsa_system_sgpr_workgroup_id_y 0
		.amdhsa_system_sgpr_workgroup_id_z 0
		.amdhsa_system_sgpr_workgroup_info 0
		.amdhsa_system_vgpr_workitem_id 0
		.amdhsa_next_free_vgpr 1
		.amdhsa_next_free_sgpr 1
		.amdhsa_reserve_vcc 0
		.amdhsa_float_round_mode_32 0
		.amdhsa_float_round_mode_16_64 0
		.amdhsa_float_denorm_mode_32 3
		.amdhsa_float_denorm_mode_16_64 3
		.amdhsa_dx10_clamp 1
		.amdhsa_ieee_mode 1
		.amdhsa_fp16_overflow 0
		.amdhsa_workgroup_processor_mode 1
		.amdhsa_memory_ordered 1
		.amdhsa_forward_progress 0
		.amdhsa_shared_vgpr_count 0
		.amdhsa_exception_fp_ieee_invalid_op 0
		.amdhsa_exception_fp_denorm_src 0
		.amdhsa_exception_fp_ieee_div_zero 0
		.amdhsa_exception_fp_ieee_overflow 0
		.amdhsa_exception_fp_ieee_underflow 0
		.amdhsa_exception_fp_ieee_inexact 0
		.amdhsa_exception_int_div_zero 0
	.end_amdhsa_kernel
	.section	.text._ZN9rocsparse29copy_farray_mix_safe_kernel_tIaDF16_vE3runILj1024EEEvmPaPKDF16_PDF16_,"axG",@progbits,_ZN9rocsparse29copy_farray_mix_safe_kernel_tIaDF16_vE3runILj1024EEEvmPaPKDF16_PDF16_,comdat
.Lfunc_end12:
	.size	_ZN9rocsparse29copy_farray_mix_safe_kernel_tIaDF16_vE3runILj1024EEEvmPaPKDF16_PDF16_, .Lfunc_end12-_ZN9rocsparse29copy_farray_mix_safe_kernel_tIaDF16_vE3runILj1024EEEvmPaPKDF16_PDF16_
                                        ; -- End function
	.section	.AMDGPU.csdata,"",@progbits
; Kernel info:
; codeLenInByte = 4
; NumSgprs: 0
; NumVgprs: 0
; ScratchSize: 0
; MemoryBound: 0
; FloatMode: 240
; IeeeMode: 1
; LDSByteSize: 0 bytes/workgroup (compile time only)
; SGPRBlocks: 0
; VGPRBlocks: 0
; NumSGPRsForWavesPerEU: 1
; NumVGPRsForWavesPerEU: 1
; Occupancy: 16
; WaveLimiterHint : 0
; COMPUTE_PGM_RSRC2:SCRATCH_EN: 0
; COMPUTE_PGM_RSRC2:USER_SGPR: 15
; COMPUTE_PGM_RSRC2:TRAP_HANDLER: 0
; COMPUTE_PGM_RSRC2:TGID_X_EN: 1
; COMPUTE_PGM_RSRC2:TGID_Y_EN: 0
; COMPUTE_PGM_RSRC2:TGID_Z_EN: 0
; COMPUTE_PGM_RSRC2:TIDIG_COMP_CNT: 0
	.section	.text._ZN9rocsparse29copy_farray_mix_safe_kernel_tIa18rocsparse_bfloat16vE3runILj1024EEEvmPaPKS1_PS1_,"axG",@progbits,_ZN9rocsparse29copy_farray_mix_safe_kernel_tIa18rocsparse_bfloat16vE3runILj1024EEEvmPaPKS1_PS1_,comdat
	.protected	_ZN9rocsparse29copy_farray_mix_safe_kernel_tIa18rocsparse_bfloat16vE3runILj1024EEEvmPaPKS1_PS1_ ; -- Begin function _ZN9rocsparse29copy_farray_mix_safe_kernel_tIa18rocsparse_bfloat16vE3runILj1024EEEvmPaPKS1_PS1_
	.globl	_ZN9rocsparse29copy_farray_mix_safe_kernel_tIa18rocsparse_bfloat16vE3runILj1024EEEvmPaPKS1_PS1_
	.p2align	8
	.type	_ZN9rocsparse29copy_farray_mix_safe_kernel_tIa18rocsparse_bfloat16vE3runILj1024EEEvmPaPKS1_PS1_,@function
_ZN9rocsparse29copy_farray_mix_safe_kernel_tIa18rocsparse_bfloat16vE3runILj1024EEEvmPaPKS1_PS1_: ; @_ZN9rocsparse29copy_farray_mix_safe_kernel_tIa18rocsparse_bfloat16vE3runILj1024EEEvmPaPKS1_PS1_
; %bb.0:
	s_endpgm
	.section	.rodata,"a",@progbits
	.p2align	6, 0x0
	.amdhsa_kernel _ZN9rocsparse29copy_farray_mix_safe_kernel_tIa18rocsparse_bfloat16vE3runILj1024EEEvmPaPKS1_PS1_
		.amdhsa_group_segment_fixed_size 0
		.amdhsa_private_segment_fixed_size 0
		.amdhsa_kernarg_size 32
		.amdhsa_user_sgpr_count 15
		.amdhsa_user_sgpr_dispatch_ptr 0
		.amdhsa_user_sgpr_queue_ptr 0
		.amdhsa_user_sgpr_kernarg_segment_ptr 1
		.amdhsa_user_sgpr_dispatch_id 0
		.amdhsa_user_sgpr_private_segment_size 0
		.amdhsa_wavefront_size32 1
		.amdhsa_uses_dynamic_stack 0
		.amdhsa_enable_private_segment 0
		.amdhsa_system_sgpr_workgroup_id_x 1
		.amdhsa_system_sgpr_workgroup_id_y 0
		.amdhsa_system_sgpr_workgroup_id_z 0
		.amdhsa_system_sgpr_workgroup_info 0
		.amdhsa_system_vgpr_workitem_id 0
		.amdhsa_next_free_vgpr 1
		.amdhsa_next_free_sgpr 1
		.amdhsa_reserve_vcc 0
		.amdhsa_float_round_mode_32 0
		.amdhsa_float_round_mode_16_64 0
		.amdhsa_float_denorm_mode_32 3
		.amdhsa_float_denorm_mode_16_64 3
		.amdhsa_dx10_clamp 1
		.amdhsa_ieee_mode 1
		.amdhsa_fp16_overflow 0
		.amdhsa_workgroup_processor_mode 1
		.amdhsa_memory_ordered 1
		.amdhsa_forward_progress 0
		.amdhsa_shared_vgpr_count 0
		.amdhsa_exception_fp_ieee_invalid_op 0
		.amdhsa_exception_fp_denorm_src 0
		.amdhsa_exception_fp_ieee_div_zero 0
		.amdhsa_exception_fp_ieee_overflow 0
		.amdhsa_exception_fp_ieee_underflow 0
		.amdhsa_exception_fp_ieee_inexact 0
		.amdhsa_exception_int_div_zero 0
	.end_amdhsa_kernel
	.section	.text._ZN9rocsparse29copy_farray_mix_safe_kernel_tIa18rocsparse_bfloat16vE3runILj1024EEEvmPaPKS1_PS1_,"axG",@progbits,_ZN9rocsparse29copy_farray_mix_safe_kernel_tIa18rocsparse_bfloat16vE3runILj1024EEEvmPaPKS1_PS1_,comdat
.Lfunc_end13:
	.size	_ZN9rocsparse29copy_farray_mix_safe_kernel_tIa18rocsparse_bfloat16vE3runILj1024EEEvmPaPKS1_PS1_, .Lfunc_end13-_ZN9rocsparse29copy_farray_mix_safe_kernel_tIa18rocsparse_bfloat16vE3runILj1024EEEvmPaPKS1_PS1_
                                        ; -- End function
	.section	.AMDGPU.csdata,"",@progbits
; Kernel info:
; codeLenInByte = 4
; NumSgprs: 0
; NumVgprs: 0
; ScratchSize: 0
; MemoryBound: 0
; FloatMode: 240
; IeeeMode: 1
; LDSByteSize: 0 bytes/workgroup (compile time only)
; SGPRBlocks: 0
; VGPRBlocks: 0
; NumSGPRsForWavesPerEU: 1
; NumVGPRsForWavesPerEU: 1
; Occupancy: 16
; WaveLimiterHint : 0
; COMPUTE_PGM_RSRC2:SCRATCH_EN: 0
; COMPUTE_PGM_RSRC2:USER_SGPR: 15
; COMPUTE_PGM_RSRC2:TRAP_HANDLER: 0
; COMPUTE_PGM_RSRC2:TGID_X_EN: 1
; COMPUTE_PGM_RSRC2:TGID_Y_EN: 0
; COMPUTE_PGM_RSRC2:TGID_Z_EN: 0
; COMPUTE_PGM_RSRC2:TIDIG_COMP_CNT: 0
	.section	.text._ZN9rocsparse29copy_farray_mix_safe_kernel_tIafvE3runILj1024EEEvmPaPKfPf,"axG",@progbits,_ZN9rocsparse29copy_farray_mix_safe_kernel_tIafvE3runILj1024EEEvmPaPKfPf,comdat
	.protected	_ZN9rocsparse29copy_farray_mix_safe_kernel_tIafvE3runILj1024EEEvmPaPKfPf ; -- Begin function _ZN9rocsparse29copy_farray_mix_safe_kernel_tIafvE3runILj1024EEEvmPaPKfPf
	.globl	_ZN9rocsparse29copy_farray_mix_safe_kernel_tIafvE3runILj1024EEEvmPaPKfPf
	.p2align	8
	.type	_ZN9rocsparse29copy_farray_mix_safe_kernel_tIafvE3runILj1024EEEvmPaPKfPf,@function
_ZN9rocsparse29copy_farray_mix_safe_kernel_tIafvE3runILj1024EEEvmPaPKfPf: ; @_ZN9rocsparse29copy_farray_mix_safe_kernel_tIafvE3runILj1024EEEvmPaPKfPf
; %bb.0:
	s_endpgm
	.section	.rodata,"a",@progbits
	.p2align	6, 0x0
	.amdhsa_kernel _ZN9rocsparse29copy_farray_mix_safe_kernel_tIafvE3runILj1024EEEvmPaPKfPf
		.amdhsa_group_segment_fixed_size 0
		.amdhsa_private_segment_fixed_size 0
		.amdhsa_kernarg_size 32
		.amdhsa_user_sgpr_count 15
		.amdhsa_user_sgpr_dispatch_ptr 0
		.amdhsa_user_sgpr_queue_ptr 0
		.amdhsa_user_sgpr_kernarg_segment_ptr 1
		.amdhsa_user_sgpr_dispatch_id 0
		.amdhsa_user_sgpr_private_segment_size 0
		.amdhsa_wavefront_size32 1
		.amdhsa_uses_dynamic_stack 0
		.amdhsa_enable_private_segment 0
		.amdhsa_system_sgpr_workgroup_id_x 1
		.amdhsa_system_sgpr_workgroup_id_y 0
		.amdhsa_system_sgpr_workgroup_id_z 0
		.amdhsa_system_sgpr_workgroup_info 0
		.amdhsa_system_vgpr_workitem_id 0
		.amdhsa_next_free_vgpr 1
		.amdhsa_next_free_sgpr 1
		.amdhsa_reserve_vcc 0
		.amdhsa_float_round_mode_32 0
		.amdhsa_float_round_mode_16_64 0
		.amdhsa_float_denorm_mode_32 3
		.amdhsa_float_denorm_mode_16_64 3
		.amdhsa_dx10_clamp 1
		.amdhsa_ieee_mode 1
		.amdhsa_fp16_overflow 0
		.amdhsa_workgroup_processor_mode 1
		.amdhsa_memory_ordered 1
		.amdhsa_forward_progress 0
		.amdhsa_shared_vgpr_count 0
		.amdhsa_exception_fp_ieee_invalid_op 0
		.amdhsa_exception_fp_denorm_src 0
		.amdhsa_exception_fp_ieee_div_zero 0
		.amdhsa_exception_fp_ieee_overflow 0
		.amdhsa_exception_fp_ieee_underflow 0
		.amdhsa_exception_fp_ieee_inexact 0
		.amdhsa_exception_int_div_zero 0
	.end_amdhsa_kernel
	.section	.text._ZN9rocsparse29copy_farray_mix_safe_kernel_tIafvE3runILj1024EEEvmPaPKfPf,"axG",@progbits,_ZN9rocsparse29copy_farray_mix_safe_kernel_tIafvE3runILj1024EEEvmPaPKfPf,comdat
.Lfunc_end14:
	.size	_ZN9rocsparse29copy_farray_mix_safe_kernel_tIafvE3runILj1024EEEvmPaPKfPf, .Lfunc_end14-_ZN9rocsparse29copy_farray_mix_safe_kernel_tIafvE3runILj1024EEEvmPaPKfPf
                                        ; -- End function
	.section	.AMDGPU.csdata,"",@progbits
; Kernel info:
; codeLenInByte = 4
; NumSgprs: 0
; NumVgprs: 0
; ScratchSize: 0
; MemoryBound: 0
; FloatMode: 240
; IeeeMode: 1
; LDSByteSize: 0 bytes/workgroup (compile time only)
; SGPRBlocks: 0
; VGPRBlocks: 0
; NumSGPRsForWavesPerEU: 1
; NumVGPRsForWavesPerEU: 1
; Occupancy: 16
; WaveLimiterHint : 0
; COMPUTE_PGM_RSRC2:SCRATCH_EN: 0
; COMPUTE_PGM_RSRC2:USER_SGPR: 15
; COMPUTE_PGM_RSRC2:TRAP_HANDLER: 0
; COMPUTE_PGM_RSRC2:TGID_X_EN: 1
; COMPUTE_PGM_RSRC2:TGID_Y_EN: 0
; COMPUTE_PGM_RSRC2:TGID_Z_EN: 0
; COMPUTE_PGM_RSRC2:TIDIG_COMP_CNT: 0
	.section	.text._ZN9rocsparse29copy_farray_mix_safe_kernel_tIadvE3runILj1024EEEvmPaPKdPd,"axG",@progbits,_ZN9rocsparse29copy_farray_mix_safe_kernel_tIadvE3runILj1024EEEvmPaPKdPd,comdat
	.protected	_ZN9rocsparse29copy_farray_mix_safe_kernel_tIadvE3runILj1024EEEvmPaPKdPd ; -- Begin function _ZN9rocsparse29copy_farray_mix_safe_kernel_tIadvE3runILj1024EEEvmPaPKdPd
	.globl	_ZN9rocsparse29copy_farray_mix_safe_kernel_tIadvE3runILj1024EEEvmPaPKdPd
	.p2align	8
	.type	_ZN9rocsparse29copy_farray_mix_safe_kernel_tIadvE3runILj1024EEEvmPaPKdPd,@function
_ZN9rocsparse29copy_farray_mix_safe_kernel_tIadvE3runILj1024EEEvmPaPKdPd: ; @_ZN9rocsparse29copy_farray_mix_safe_kernel_tIadvE3runILj1024EEEvmPaPKdPd
; %bb.0:
	s_endpgm
	.section	.rodata,"a",@progbits
	.p2align	6, 0x0
	.amdhsa_kernel _ZN9rocsparse29copy_farray_mix_safe_kernel_tIadvE3runILj1024EEEvmPaPKdPd
		.amdhsa_group_segment_fixed_size 0
		.amdhsa_private_segment_fixed_size 0
		.amdhsa_kernarg_size 32
		.amdhsa_user_sgpr_count 15
		.amdhsa_user_sgpr_dispatch_ptr 0
		.amdhsa_user_sgpr_queue_ptr 0
		.amdhsa_user_sgpr_kernarg_segment_ptr 1
		.amdhsa_user_sgpr_dispatch_id 0
		.amdhsa_user_sgpr_private_segment_size 0
		.amdhsa_wavefront_size32 1
		.amdhsa_uses_dynamic_stack 0
		.amdhsa_enable_private_segment 0
		.amdhsa_system_sgpr_workgroup_id_x 1
		.amdhsa_system_sgpr_workgroup_id_y 0
		.amdhsa_system_sgpr_workgroup_id_z 0
		.amdhsa_system_sgpr_workgroup_info 0
		.amdhsa_system_vgpr_workitem_id 0
		.amdhsa_next_free_vgpr 1
		.amdhsa_next_free_sgpr 1
		.amdhsa_reserve_vcc 0
		.amdhsa_float_round_mode_32 0
		.amdhsa_float_round_mode_16_64 0
		.amdhsa_float_denorm_mode_32 3
		.amdhsa_float_denorm_mode_16_64 3
		.amdhsa_dx10_clamp 1
		.amdhsa_ieee_mode 1
		.amdhsa_fp16_overflow 0
		.amdhsa_workgroup_processor_mode 1
		.amdhsa_memory_ordered 1
		.amdhsa_forward_progress 0
		.amdhsa_shared_vgpr_count 0
		.amdhsa_exception_fp_ieee_invalid_op 0
		.amdhsa_exception_fp_denorm_src 0
		.amdhsa_exception_fp_ieee_div_zero 0
		.amdhsa_exception_fp_ieee_overflow 0
		.amdhsa_exception_fp_ieee_underflow 0
		.amdhsa_exception_fp_ieee_inexact 0
		.amdhsa_exception_int_div_zero 0
	.end_amdhsa_kernel
	.section	.text._ZN9rocsparse29copy_farray_mix_safe_kernel_tIadvE3runILj1024EEEvmPaPKdPd,"axG",@progbits,_ZN9rocsparse29copy_farray_mix_safe_kernel_tIadvE3runILj1024EEEvmPaPKdPd,comdat
.Lfunc_end15:
	.size	_ZN9rocsparse29copy_farray_mix_safe_kernel_tIadvE3runILj1024EEEvmPaPKdPd, .Lfunc_end15-_ZN9rocsparse29copy_farray_mix_safe_kernel_tIadvE3runILj1024EEEvmPaPKdPd
                                        ; -- End function
	.section	.AMDGPU.csdata,"",@progbits
; Kernel info:
; codeLenInByte = 4
; NumSgprs: 0
; NumVgprs: 0
; ScratchSize: 0
; MemoryBound: 0
; FloatMode: 240
; IeeeMode: 1
; LDSByteSize: 0 bytes/workgroup (compile time only)
; SGPRBlocks: 0
; VGPRBlocks: 0
; NumSGPRsForWavesPerEU: 1
; NumVGPRsForWavesPerEU: 1
; Occupancy: 16
; WaveLimiterHint : 0
; COMPUTE_PGM_RSRC2:SCRATCH_EN: 0
; COMPUTE_PGM_RSRC2:USER_SGPR: 15
; COMPUTE_PGM_RSRC2:TRAP_HANDLER: 0
; COMPUTE_PGM_RSRC2:TGID_X_EN: 1
; COMPUTE_PGM_RSRC2:TGID_Y_EN: 0
; COMPUTE_PGM_RSRC2:TGID_Z_EN: 0
; COMPUTE_PGM_RSRC2:TIDIG_COMP_CNT: 0
	.section	.text._ZN9rocsparse29copy_farray_mix_safe_kernel_tIa21rocsparse_complex_numIfEvE3runILj1024EEEvmPaPKS2_Pf,"axG",@progbits,_ZN9rocsparse29copy_farray_mix_safe_kernel_tIa21rocsparse_complex_numIfEvE3runILj1024EEEvmPaPKS2_Pf,comdat
	.protected	_ZN9rocsparse29copy_farray_mix_safe_kernel_tIa21rocsparse_complex_numIfEvE3runILj1024EEEvmPaPKS2_Pf ; -- Begin function _ZN9rocsparse29copy_farray_mix_safe_kernel_tIa21rocsparse_complex_numIfEvE3runILj1024EEEvmPaPKS2_Pf
	.globl	_ZN9rocsparse29copy_farray_mix_safe_kernel_tIa21rocsparse_complex_numIfEvE3runILj1024EEEvmPaPKS2_Pf
	.p2align	8
	.type	_ZN9rocsparse29copy_farray_mix_safe_kernel_tIa21rocsparse_complex_numIfEvE3runILj1024EEEvmPaPKS2_Pf,@function
_ZN9rocsparse29copy_farray_mix_safe_kernel_tIa21rocsparse_complex_numIfEvE3runILj1024EEEvmPaPKS2_Pf: ; @_ZN9rocsparse29copy_farray_mix_safe_kernel_tIa21rocsparse_complex_numIfEvE3runILj1024EEEvmPaPKS2_Pf
; %bb.0:
	s_endpgm
	.section	.rodata,"a",@progbits
	.p2align	6, 0x0
	.amdhsa_kernel _ZN9rocsparse29copy_farray_mix_safe_kernel_tIa21rocsparse_complex_numIfEvE3runILj1024EEEvmPaPKS2_Pf
		.amdhsa_group_segment_fixed_size 0
		.amdhsa_private_segment_fixed_size 0
		.amdhsa_kernarg_size 32
		.amdhsa_user_sgpr_count 15
		.amdhsa_user_sgpr_dispatch_ptr 0
		.amdhsa_user_sgpr_queue_ptr 0
		.amdhsa_user_sgpr_kernarg_segment_ptr 1
		.amdhsa_user_sgpr_dispatch_id 0
		.amdhsa_user_sgpr_private_segment_size 0
		.amdhsa_wavefront_size32 1
		.amdhsa_uses_dynamic_stack 0
		.amdhsa_enable_private_segment 0
		.amdhsa_system_sgpr_workgroup_id_x 1
		.amdhsa_system_sgpr_workgroup_id_y 0
		.amdhsa_system_sgpr_workgroup_id_z 0
		.amdhsa_system_sgpr_workgroup_info 0
		.amdhsa_system_vgpr_workitem_id 0
		.amdhsa_next_free_vgpr 1
		.amdhsa_next_free_sgpr 1
		.amdhsa_reserve_vcc 0
		.amdhsa_float_round_mode_32 0
		.amdhsa_float_round_mode_16_64 0
		.amdhsa_float_denorm_mode_32 3
		.amdhsa_float_denorm_mode_16_64 3
		.amdhsa_dx10_clamp 1
		.amdhsa_ieee_mode 1
		.amdhsa_fp16_overflow 0
		.amdhsa_workgroup_processor_mode 1
		.amdhsa_memory_ordered 1
		.amdhsa_forward_progress 0
		.amdhsa_shared_vgpr_count 0
		.amdhsa_exception_fp_ieee_invalid_op 0
		.amdhsa_exception_fp_denorm_src 0
		.amdhsa_exception_fp_ieee_div_zero 0
		.amdhsa_exception_fp_ieee_overflow 0
		.amdhsa_exception_fp_ieee_underflow 0
		.amdhsa_exception_fp_ieee_inexact 0
		.amdhsa_exception_int_div_zero 0
	.end_amdhsa_kernel
	.section	.text._ZN9rocsparse29copy_farray_mix_safe_kernel_tIa21rocsparse_complex_numIfEvE3runILj1024EEEvmPaPKS2_Pf,"axG",@progbits,_ZN9rocsparse29copy_farray_mix_safe_kernel_tIa21rocsparse_complex_numIfEvE3runILj1024EEEvmPaPKS2_Pf,comdat
.Lfunc_end16:
	.size	_ZN9rocsparse29copy_farray_mix_safe_kernel_tIa21rocsparse_complex_numIfEvE3runILj1024EEEvmPaPKS2_Pf, .Lfunc_end16-_ZN9rocsparse29copy_farray_mix_safe_kernel_tIa21rocsparse_complex_numIfEvE3runILj1024EEEvmPaPKS2_Pf
                                        ; -- End function
	.section	.AMDGPU.csdata,"",@progbits
; Kernel info:
; codeLenInByte = 4
; NumSgprs: 0
; NumVgprs: 0
; ScratchSize: 0
; MemoryBound: 0
; FloatMode: 240
; IeeeMode: 1
; LDSByteSize: 0 bytes/workgroup (compile time only)
; SGPRBlocks: 0
; VGPRBlocks: 0
; NumSGPRsForWavesPerEU: 1
; NumVGPRsForWavesPerEU: 1
; Occupancy: 16
; WaveLimiterHint : 0
; COMPUTE_PGM_RSRC2:SCRATCH_EN: 0
; COMPUTE_PGM_RSRC2:USER_SGPR: 15
; COMPUTE_PGM_RSRC2:TRAP_HANDLER: 0
; COMPUTE_PGM_RSRC2:TGID_X_EN: 1
; COMPUTE_PGM_RSRC2:TGID_Y_EN: 0
; COMPUTE_PGM_RSRC2:TGID_Z_EN: 0
; COMPUTE_PGM_RSRC2:TIDIG_COMP_CNT: 0
	.section	.text._ZN9rocsparse29copy_farray_mix_safe_kernel_tIa21rocsparse_complex_numIdEvE3runILj1024EEEvmPaPKS2_Pd,"axG",@progbits,_ZN9rocsparse29copy_farray_mix_safe_kernel_tIa21rocsparse_complex_numIdEvE3runILj1024EEEvmPaPKS2_Pd,comdat
	.protected	_ZN9rocsparse29copy_farray_mix_safe_kernel_tIa21rocsparse_complex_numIdEvE3runILj1024EEEvmPaPKS2_Pd ; -- Begin function _ZN9rocsparse29copy_farray_mix_safe_kernel_tIa21rocsparse_complex_numIdEvE3runILj1024EEEvmPaPKS2_Pd
	.globl	_ZN9rocsparse29copy_farray_mix_safe_kernel_tIa21rocsparse_complex_numIdEvE3runILj1024EEEvmPaPKS2_Pd
	.p2align	8
	.type	_ZN9rocsparse29copy_farray_mix_safe_kernel_tIa21rocsparse_complex_numIdEvE3runILj1024EEEvmPaPKS2_Pd,@function
_ZN9rocsparse29copy_farray_mix_safe_kernel_tIa21rocsparse_complex_numIdEvE3runILj1024EEEvmPaPKS2_Pd: ; @_ZN9rocsparse29copy_farray_mix_safe_kernel_tIa21rocsparse_complex_numIdEvE3runILj1024EEEvmPaPKS2_Pd
; %bb.0:
	s_endpgm
	.section	.rodata,"a",@progbits
	.p2align	6, 0x0
	.amdhsa_kernel _ZN9rocsparse29copy_farray_mix_safe_kernel_tIa21rocsparse_complex_numIdEvE3runILj1024EEEvmPaPKS2_Pd
		.amdhsa_group_segment_fixed_size 0
		.amdhsa_private_segment_fixed_size 0
		.amdhsa_kernarg_size 32
		.amdhsa_user_sgpr_count 15
		.amdhsa_user_sgpr_dispatch_ptr 0
		.amdhsa_user_sgpr_queue_ptr 0
		.amdhsa_user_sgpr_kernarg_segment_ptr 1
		.amdhsa_user_sgpr_dispatch_id 0
		.amdhsa_user_sgpr_private_segment_size 0
		.amdhsa_wavefront_size32 1
		.amdhsa_uses_dynamic_stack 0
		.amdhsa_enable_private_segment 0
		.amdhsa_system_sgpr_workgroup_id_x 1
		.amdhsa_system_sgpr_workgroup_id_y 0
		.amdhsa_system_sgpr_workgroup_id_z 0
		.amdhsa_system_sgpr_workgroup_info 0
		.amdhsa_system_vgpr_workitem_id 0
		.amdhsa_next_free_vgpr 1
		.amdhsa_next_free_sgpr 1
		.amdhsa_reserve_vcc 0
		.amdhsa_float_round_mode_32 0
		.amdhsa_float_round_mode_16_64 0
		.amdhsa_float_denorm_mode_32 3
		.amdhsa_float_denorm_mode_16_64 3
		.amdhsa_dx10_clamp 1
		.amdhsa_ieee_mode 1
		.amdhsa_fp16_overflow 0
		.amdhsa_workgroup_processor_mode 1
		.amdhsa_memory_ordered 1
		.amdhsa_forward_progress 0
		.amdhsa_shared_vgpr_count 0
		.amdhsa_exception_fp_ieee_invalid_op 0
		.amdhsa_exception_fp_denorm_src 0
		.amdhsa_exception_fp_ieee_div_zero 0
		.amdhsa_exception_fp_ieee_overflow 0
		.amdhsa_exception_fp_ieee_underflow 0
		.amdhsa_exception_fp_ieee_inexact 0
		.amdhsa_exception_int_div_zero 0
	.end_amdhsa_kernel
	.section	.text._ZN9rocsparse29copy_farray_mix_safe_kernel_tIa21rocsparse_complex_numIdEvE3runILj1024EEEvmPaPKS2_Pd,"axG",@progbits,_ZN9rocsparse29copy_farray_mix_safe_kernel_tIa21rocsparse_complex_numIdEvE3runILj1024EEEvmPaPKS2_Pd,comdat
.Lfunc_end17:
	.size	_ZN9rocsparse29copy_farray_mix_safe_kernel_tIa21rocsparse_complex_numIdEvE3runILj1024EEEvmPaPKS2_Pd, .Lfunc_end17-_ZN9rocsparse29copy_farray_mix_safe_kernel_tIa21rocsparse_complex_numIdEvE3runILj1024EEEvmPaPKS2_Pd
                                        ; -- End function
	.section	.AMDGPU.csdata,"",@progbits
; Kernel info:
; codeLenInByte = 4
; NumSgprs: 0
; NumVgprs: 0
; ScratchSize: 0
; MemoryBound: 0
; FloatMode: 240
; IeeeMode: 1
; LDSByteSize: 0 bytes/workgroup (compile time only)
; SGPRBlocks: 0
; VGPRBlocks: 0
; NumSGPRsForWavesPerEU: 1
; NumVGPRsForWavesPerEU: 1
; Occupancy: 16
; WaveLimiterHint : 0
; COMPUTE_PGM_RSRC2:SCRATCH_EN: 0
; COMPUTE_PGM_RSRC2:USER_SGPR: 15
; COMPUTE_PGM_RSRC2:TRAP_HANDLER: 0
; COMPUTE_PGM_RSRC2:TGID_X_EN: 1
; COMPUTE_PGM_RSRC2:TGID_Y_EN: 0
; COMPUTE_PGM_RSRC2:TGID_Z_EN: 0
; COMPUTE_PGM_RSRC2:TIDIG_COMP_CNT: 0
	.section	.text._ZN9rocsparse29copy_farray_mix_safe_kernel_tIhavE3runILj1024EEEvmPhPKaPa,"axG",@progbits,_ZN9rocsparse29copy_farray_mix_safe_kernel_tIhavE3runILj1024EEEvmPhPKaPa,comdat
	.protected	_ZN9rocsparse29copy_farray_mix_safe_kernel_tIhavE3runILj1024EEEvmPhPKaPa ; -- Begin function _ZN9rocsparse29copy_farray_mix_safe_kernel_tIhavE3runILj1024EEEvmPhPKaPa
	.globl	_ZN9rocsparse29copy_farray_mix_safe_kernel_tIhavE3runILj1024EEEvmPhPKaPa
	.p2align	8
	.type	_ZN9rocsparse29copy_farray_mix_safe_kernel_tIhavE3runILj1024EEEvmPhPKaPa,@function
_ZN9rocsparse29copy_farray_mix_safe_kernel_tIhavE3runILj1024EEEvmPhPKaPa: ; @_ZN9rocsparse29copy_farray_mix_safe_kernel_tIhavE3runILj1024EEEvmPhPKaPa
; %bb.0:
	s_endpgm
	.section	.rodata,"a",@progbits
	.p2align	6, 0x0
	.amdhsa_kernel _ZN9rocsparse29copy_farray_mix_safe_kernel_tIhavE3runILj1024EEEvmPhPKaPa
		.amdhsa_group_segment_fixed_size 0
		.amdhsa_private_segment_fixed_size 0
		.amdhsa_kernarg_size 32
		.amdhsa_user_sgpr_count 15
		.amdhsa_user_sgpr_dispatch_ptr 0
		.amdhsa_user_sgpr_queue_ptr 0
		.amdhsa_user_sgpr_kernarg_segment_ptr 1
		.amdhsa_user_sgpr_dispatch_id 0
		.amdhsa_user_sgpr_private_segment_size 0
		.amdhsa_wavefront_size32 1
		.amdhsa_uses_dynamic_stack 0
		.amdhsa_enable_private_segment 0
		.amdhsa_system_sgpr_workgroup_id_x 1
		.amdhsa_system_sgpr_workgroup_id_y 0
		.amdhsa_system_sgpr_workgroup_id_z 0
		.amdhsa_system_sgpr_workgroup_info 0
		.amdhsa_system_vgpr_workitem_id 0
		.amdhsa_next_free_vgpr 1
		.amdhsa_next_free_sgpr 1
		.amdhsa_reserve_vcc 0
		.amdhsa_float_round_mode_32 0
		.amdhsa_float_round_mode_16_64 0
		.amdhsa_float_denorm_mode_32 3
		.amdhsa_float_denorm_mode_16_64 3
		.amdhsa_dx10_clamp 1
		.amdhsa_ieee_mode 1
		.amdhsa_fp16_overflow 0
		.amdhsa_workgroup_processor_mode 1
		.amdhsa_memory_ordered 1
		.amdhsa_forward_progress 0
		.amdhsa_shared_vgpr_count 0
		.amdhsa_exception_fp_ieee_invalid_op 0
		.amdhsa_exception_fp_denorm_src 0
		.amdhsa_exception_fp_ieee_div_zero 0
		.amdhsa_exception_fp_ieee_overflow 0
		.amdhsa_exception_fp_ieee_underflow 0
		.amdhsa_exception_fp_ieee_inexact 0
		.amdhsa_exception_int_div_zero 0
	.end_amdhsa_kernel
	.section	.text._ZN9rocsparse29copy_farray_mix_safe_kernel_tIhavE3runILj1024EEEvmPhPKaPa,"axG",@progbits,_ZN9rocsparse29copy_farray_mix_safe_kernel_tIhavE3runILj1024EEEvmPhPKaPa,comdat
.Lfunc_end18:
	.size	_ZN9rocsparse29copy_farray_mix_safe_kernel_tIhavE3runILj1024EEEvmPhPKaPa, .Lfunc_end18-_ZN9rocsparse29copy_farray_mix_safe_kernel_tIhavE3runILj1024EEEvmPhPKaPa
                                        ; -- End function
	.section	.AMDGPU.csdata,"",@progbits
; Kernel info:
; codeLenInByte = 4
; NumSgprs: 0
; NumVgprs: 0
; ScratchSize: 0
; MemoryBound: 0
; FloatMode: 240
; IeeeMode: 1
; LDSByteSize: 0 bytes/workgroup (compile time only)
; SGPRBlocks: 0
; VGPRBlocks: 0
; NumSGPRsForWavesPerEU: 1
; NumVGPRsForWavesPerEU: 1
; Occupancy: 16
; WaveLimiterHint : 0
; COMPUTE_PGM_RSRC2:SCRATCH_EN: 0
; COMPUTE_PGM_RSRC2:USER_SGPR: 15
; COMPUTE_PGM_RSRC2:TRAP_HANDLER: 0
; COMPUTE_PGM_RSRC2:TGID_X_EN: 1
; COMPUTE_PGM_RSRC2:TGID_Y_EN: 0
; COMPUTE_PGM_RSRC2:TGID_Z_EN: 0
; COMPUTE_PGM_RSRC2:TIDIG_COMP_CNT: 0
	.section	.text._ZN9rocsparse29copy_farray_mix_safe_kernel_tIhhvE3runILj1024EEEvmPhPKhS3_,"axG",@progbits,_ZN9rocsparse29copy_farray_mix_safe_kernel_tIhhvE3runILj1024EEEvmPhPKhS3_,comdat
	.protected	_ZN9rocsparse29copy_farray_mix_safe_kernel_tIhhvE3runILj1024EEEvmPhPKhS3_ ; -- Begin function _ZN9rocsparse29copy_farray_mix_safe_kernel_tIhhvE3runILj1024EEEvmPhPKhS3_
	.globl	_ZN9rocsparse29copy_farray_mix_safe_kernel_tIhhvE3runILj1024EEEvmPhPKhS3_
	.p2align	8
	.type	_ZN9rocsparse29copy_farray_mix_safe_kernel_tIhhvE3runILj1024EEEvmPhPKhS3_,@function
_ZN9rocsparse29copy_farray_mix_safe_kernel_tIhhvE3runILj1024EEEvmPhPKhS3_: ; @_ZN9rocsparse29copy_farray_mix_safe_kernel_tIhhvE3runILj1024EEEvmPhPKhS3_
; %bb.0:
	s_load_b128 s[4:7], s[0:1], 0x0
	v_lshl_or_b32 v0, s15, 10, v0
	v_mov_b32_e32 v1, 0
	s_mov_b32 s2, exec_lo
	s_waitcnt lgkmcnt(0)
	s_delay_alu instid0(VALU_DEP_1)
	v_cmpx_gt_u64_e64 s[4:5], v[0:1]
	s_cbranch_execz .LBB19_2
; %bb.1:
	s_load_b64 s[0:1], s[0:1], 0x10
	s_waitcnt lgkmcnt(0)
	v_add_co_u32 v1, s0, s0, v0
	s_delay_alu instid0(VALU_DEP_1)
	v_add_co_ci_u32_e64 v2, null, s1, 0, s0
	v_add_co_u32 v0, s0, s6, v0
	global_load_u8 v2, v[1:2], off
	v_add_co_ci_u32_e64 v1, null, s7, 0, s0
	s_waitcnt vmcnt(0)
	global_store_b8 v[0:1], v2, off
.LBB19_2:
	s_nop 0
	s_sendmsg sendmsg(MSG_DEALLOC_VGPRS)
	s_endpgm
	.section	.rodata,"a",@progbits
	.p2align	6, 0x0
	.amdhsa_kernel _ZN9rocsparse29copy_farray_mix_safe_kernel_tIhhvE3runILj1024EEEvmPhPKhS3_
		.amdhsa_group_segment_fixed_size 0
		.amdhsa_private_segment_fixed_size 0
		.amdhsa_kernarg_size 32
		.amdhsa_user_sgpr_count 15
		.amdhsa_user_sgpr_dispatch_ptr 0
		.amdhsa_user_sgpr_queue_ptr 0
		.amdhsa_user_sgpr_kernarg_segment_ptr 1
		.amdhsa_user_sgpr_dispatch_id 0
		.amdhsa_user_sgpr_private_segment_size 0
		.amdhsa_wavefront_size32 1
		.amdhsa_uses_dynamic_stack 0
		.amdhsa_enable_private_segment 0
		.amdhsa_system_sgpr_workgroup_id_x 1
		.amdhsa_system_sgpr_workgroup_id_y 0
		.amdhsa_system_sgpr_workgroup_id_z 0
		.amdhsa_system_sgpr_workgroup_info 0
		.amdhsa_system_vgpr_workitem_id 0
		.amdhsa_next_free_vgpr 3
		.amdhsa_next_free_sgpr 16
		.amdhsa_reserve_vcc 0
		.amdhsa_float_round_mode_32 0
		.amdhsa_float_round_mode_16_64 0
		.amdhsa_float_denorm_mode_32 3
		.amdhsa_float_denorm_mode_16_64 3
		.amdhsa_dx10_clamp 1
		.amdhsa_ieee_mode 1
		.amdhsa_fp16_overflow 0
		.amdhsa_workgroup_processor_mode 1
		.amdhsa_memory_ordered 1
		.amdhsa_forward_progress 0
		.amdhsa_shared_vgpr_count 0
		.amdhsa_exception_fp_ieee_invalid_op 0
		.amdhsa_exception_fp_denorm_src 0
		.amdhsa_exception_fp_ieee_div_zero 0
		.amdhsa_exception_fp_ieee_overflow 0
		.amdhsa_exception_fp_ieee_underflow 0
		.amdhsa_exception_fp_ieee_inexact 0
		.amdhsa_exception_int_div_zero 0
	.end_amdhsa_kernel
	.section	.text._ZN9rocsparse29copy_farray_mix_safe_kernel_tIhhvE3runILj1024EEEvmPhPKhS3_,"axG",@progbits,_ZN9rocsparse29copy_farray_mix_safe_kernel_tIhhvE3runILj1024EEEvmPhPKhS3_,comdat
.Lfunc_end19:
	.size	_ZN9rocsparse29copy_farray_mix_safe_kernel_tIhhvE3runILj1024EEEvmPhPKhS3_, .Lfunc_end19-_ZN9rocsparse29copy_farray_mix_safe_kernel_tIhhvE3runILj1024EEEvmPhPKhS3_
                                        ; -- End function
	.section	.AMDGPU.csdata,"",@progbits
; Kernel info:
; codeLenInByte = 124
; NumSgprs: 16
; NumVgprs: 3
; ScratchSize: 0
; MemoryBound: 0
; FloatMode: 240
; IeeeMode: 1
; LDSByteSize: 0 bytes/workgroup (compile time only)
; SGPRBlocks: 1
; VGPRBlocks: 0
; NumSGPRsForWavesPerEU: 16
; NumVGPRsForWavesPerEU: 3
; Occupancy: 16
; WaveLimiterHint : 0
; COMPUTE_PGM_RSRC2:SCRATCH_EN: 0
; COMPUTE_PGM_RSRC2:USER_SGPR: 15
; COMPUTE_PGM_RSRC2:TRAP_HANDLER: 0
; COMPUTE_PGM_RSRC2:TGID_X_EN: 1
; COMPUTE_PGM_RSRC2:TGID_Y_EN: 0
; COMPUTE_PGM_RSRC2:TGID_Z_EN: 0
; COMPUTE_PGM_RSRC2:TIDIG_COMP_CNT: 0
	.section	.text._ZN9rocsparse29copy_farray_mix_safe_kernel_tIhivE3runILj1024EEEvmPhPKiPi,"axG",@progbits,_ZN9rocsparse29copy_farray_mix_safe_kernel_tIhivE3runILj1024EEEvmPhPKiPi,comdat
	.protected	_ZN9rocsparse29copy_farray_mix_safe_kernel_tIhivE3runILj1024EEEvmPhPKiPi ; -- Begin function _ZN9rocsparse29copy_farray_mix_safe_kernel_tIhivE3runILj1024EEEvmPhPKiPi
	.globl	_ZN9rocsparse29copy_farray_mix_safe_kernel_tIhivE3runILj1024EEEvmPhPKiPi
	.p2align	8
	.type	_ZN9rocsparse29copy_farray_mix_safe_kernel_tIhivE3runILj1024EEEvmPhPKiPi,@function
_ZN9rocsparse29copy_farray_mix_safe_kernel_tIhivE3runILj1024EEEvmPhPKiPi: ; @_ZN9rocsparse29copy_farray_mix_safe_kernel_tIhivE3runILj1024EEEvmPhPKiPi
; %bb.0:
	s_endpgm
	.section	.rodata,"a",@progbits
	.p2align	6, 0x0
	.amdhsa_kernel _ZN9rocsparse29copy_farray_mix_safe_kernel_tIhivE3runILj1024EEEvmPhPKiPi
		.amdhsa_group_segment_fixed_size 0
		.amdhsa_private_segment_fixed_size 0
		.amdhsa_kernarg_size 32
		.amdhsa_user_sgpr_count 15
		.amdhsa_user_sgpr_dispatch_ptr 0
		.amdhsa_user_sgpr_queue_ptr 0
		.amdhsa_user_sgpr_kernarg_segment_ptr 1
		.amdhsa_user_sgpr_dispatch_id 0
		.amdhsa_user_sgpr_private_segment_size 0
		.amdhsa_wavefront_size32 1
		.amdhsa_uses_dynamic_stack 0
		.amdhsa_enable_private_segment 0
		.amdhsa_system_sgpr_workgroup_id_x 1
		.amdhsa_system_sgpr_workgroup_id_y 0
		.amdhsa_system_sgpr_workgroup_id_z 0
		.amdhsa_system_sgpr_workgroup_info 0
		.amdhsa_system_vgpr_workitem_id 0
		.amdhsa_next_free_vgpr 1
		.amdhsa_next_free_sgpr 1
		.amdhsa_reserve_vcc 0
		.amdhsa_float_round_mode_32 0
		.amdhsa_float_round_mode_16_64 0
		.amdhsa_float_denorm_mode_32 3
		.amdhsa_float_denorm_mode_16_64 3
		.amdhsa_dx10_clamp 1
		.amdhsa_ieee_mode 1
		.amdhsa_fp16_overflow 0
		.amdhsa_workgroup_processor_mode 1
		.amdhsa_memory_ordered 1
		.amdhsa_forward_progress 0
		.amdhsa_shared_vgpr_count 0
		.amdhsa_exception_fp_ieee_invalid_op 0
		.amdhsa_exception_fp_denorm_src 0
		.amdhsa_exception_fp_ieee_div_zero 0
		.amdhsa_exception_fp_ieee_overflow 0
		.amdhsa_exception_fp_ieee_underflow 0
		.amdhsa_exception_fp_ieee_inexact 0
		.amdhsa_exception_int_div_zero 0
	.end_amdhsa_kernel
	.section	.text._ZN9rocsparse29copy_farray_mix_safe_kernel_tIhivE3runILj1024EEEvmPhPKiPi,"axG",@progbits,_ZN9rocsparse29copy_farray_mix_safe_kernel_tIhivE3runILj1024EEEvmPhPKiPi,comdat
.Lfunc_end20:
	.size	_ZN9rocsparse29copy_farray_mix_safe_kernel_tIhivE3runILj1024EEEvmPhPKiPi, .Lfunc_end20-_ZN9rocsparse29copy_farray_mix_safe_kernel_tIhivE3runILj1024EEEvmPhPKiPi
                                        ; -- End function
	.section	.AMDGPU.csdata,"",@progbits
; Kernel info:
; codeLenInByte = 4
; NumSgprs: 0
; NumVgprs: 0
; ScratchSize: 0
; MemoryBound: 0
; FloatMode: 240
; IeeeMode: 1
; LDSByteSize: 0 bytes/workgroup (compile time only)
; SGPRBlocks: 0
; VGPRBlocks: 0
; NumSGPRsForWavesPerEU: 1
; NumVGPRsForWavesPerEU: 1
; Occupancy: 16
; WaveLimiterHint : 0
; COMPUTE_PGM_RSRC2:SCRATCH_EN: 0
; COMPUTE_PGM_RSRC2:USER_SGPR: 15
; COMPUTE_PGM_RSRC2:TRAP_HANDLER: 0
; COMPUTE_PGM_RSRC2:TGID_X_EN: 1
; COMPUTE_PGM_RSRC2:TGID_Y_EN: 0
; COMPUTE_PGM_RSRC2:TGID_Z_EN: 0
; COMPUTE_PGM_RSRC2:TIDIG_COMP_CNT: 0
	.section	.text._ZN9rocsparse29copy_farray_mix_safe_kernel_tIhjvE3runILj1024EEEvmPhPKjPj,"axG",@progbits,_ZN9rocsparse29copy_farray_mix_safe_kernel_tIhjvE3runILj1024EEEvmPhPKjPj,comdat
	.protected	_ZN9rocsparse29copy_farray_mix_safe_kernel_tIhjvE3runILj1024EEEvmPhPKjPj ; -- Begin function _ZN9rocsparse29copy_farray_mix_safe_kernel_tIhjvE3runILj1024EEEvmPhPKjPj
	.globl	_ZN9rocsparse29copy_farray_mix_safe_kernel_tIhjvE3runILj1024EEEvmPhPKjPj
	.p2align	8
	.type	_ZN9rocsparse29copy_farray_mix_safe_kernel_tIhjvE3runILj1024EEEvmPhPKjPj,@function
_ZN9rocsparse29copy_farray_mix_safe_kernel_tIhjvE3runILj1024EEEvmPhPKjPj: ; @_ZN9rocsparse29copy_farray_mix_safe_kernel_tIhjvE3runILj1024EEEvmPhPKjPj
; %bb.0:
	s_endpgm
	.section	.rodata,"a",@progbits
	.p2align	6, 0x0
	.amdhsa_kernel _ZN9rocsparse29copy_farray_mix_safe_kernel_tIhjvE3runILj1024EEEvmPhPKjPj
		.amdhsa_group_segment_fixed_size 0
		.amdhsa_private_segment_fixed_size 0
		.amdhsa_kernarg_size 32
		.amdhsa_user_sgpr_count 15
		.amdhsa_user_sgpr_dispatch_ptr 0
		.amdhsa_user_sgpr_queue_ptr 0
		.amdhsa_user_sgpr_kernarg_segment_ptr 1
		.amdhsa_user_sgpr_dispatch_id 0
		.amdhsa_user_sgpr_private_segment_size 0
		.amdhsa_wavefront_size32 1
		.amdhsa_uses_dynamic_stack 0
		.amdhsa_enable_private_segment 0
		.amdhsa_system_sgpr_workgroup_id_x 1
		.amdhsa_system_sgpr_workgroup_id_y 0
		.amdhsa_system_sgpr_workgroup_id_z 0
		.amdhsa_system_sgpr_workgroup_info 0
		.amdhsa_system_vgpr_workitem_id 0
		.amdhsa_next_free_vgpr 1
		.amdhsa_next_free_sgpr 1
		.amdhsa_reserve_vcc 0
		.amdhsa_float_round_mode_32 0
		.amdhsa_float_round_mode_16_64 0
		.amdhsa_float_denorm_mode_32 3
		.amdhsa_float_denorm_mode_16_64 3
		.amdhsa_dx10_clamp 1
		.amdhsa_ieee_mode 1
		.amdhsa_fp16_overflow 0
		.amdhsa_workgroup_processor_mode 1
		.amdhsa_memory_ordered 1
		.amdhsa_forward_progress 0
		.amdhsa_shared_vgpr_count 0
		.amdhsa_exception_fp_ieee_invalid_op 0
		.amdhsa_exception_fp_denorm_src 0
		.amdhsa_exception_fp_ieee_div_zero 0
		.amdhsa_exception_fp_ieee_overflow 0
		.amdhsa_exception_fp_ieee_underflow 0
		.amdhsa_exception_fp_ieee_inexact 0
		.amdhsa_exception_int_div_zero 0
	.end_amdhsa_kernel
	.section	.text._ZN9rocsparse29copy_farray_mix_safe_kernel_tIhjvE3runILj1024EEEvmPhPKjPj,"axG",@progbits,_ZN9rocsparse29copy_farray_mix_safe_kernel_tIhjvE3runILj1024EEEvmPhPKjPj,comdat
.Lfunc_end21:
	.size	_ZN9rocsparse29copy_farray_mix_safe_kernel_tIhjvE3runILj1024EEEvmPhPKjPj, .Lfunc_end21-_ZN9rocsparse29copy_farray_mix_safe_kernel_tIhjvE3runILj1024EEEvmPhPKjPj
                                        ; -- End function
	.section	.AMDGPU.csdata,"",@progbits
; Kernel info:
; codeLenInByte = 4
; NumSgprs: 0
; NumVgprs: 0
; ScratchSize: 0
; MemoryBound: 0
; FloatMode: 240
; IeeeMode: 1
; LDSByteSize: 0 bytes/workgroup (compile time only)
; SGPRBlocks: 0
; VGPRBlocks: 0
; NumSGPRsForWavesPerEU: 1
; NumVGPRsForWavesPerEU: 1
; Occupancy: 16
; WaveLimiterHint : 0
; COMPUTE_PGM_RSRC2:SCRATCH_EN: 0
; COMPUTE_PGM_RSRC2:USER_SGPR: 15
; COMPUTE_PGM_RSRC2:TRAP_HANDLER: 0
; COMPUTE_PGM_RSRC2:TGID_X_EN: 1
; COMPUTE_PGM_RSRC2:TGID_Y_EN: 0
; COMPUTE_PGM_RSRC2:TGID_Z_EN: 0
; COMPUTE_PGM_RSRC2:TIDIG_COMP_CNT: 0
	.section	.text._ZN9rocsparse29copy_farray_mix_safe_kernel_tIhDF16_vE3runILj1024EEEvmPhPKDF16_PDF16_,"axG",@progbits,_ZN9rocsparse29copy_farray_mix_safe_kernel_tIhDF16_vE3runILj1024EEEvmPhPKDF16_PDF16_,comdat
	.protected	_ZN9rocsparse29copy_farray_mix_safe_kernel_tIhDF16_vE3runILj1024EEEvmPhPKDF16_PDF16_ ; -- Begin function _ZN9rocsparse29copy_farray_mix_safe_kernel_tIhDF16_vE3runILj1024EEEvmPhPKDF16_PDF16_
	.globl	_ZN9rocsparse29copy_farray_mix_safe_kernel_tIhDF16_vE3runILj1024EEEvmPhPKDF16_PDF16_
	.p2align	8
	.type	_ZN9rocsparse29copy_farray_mix_safe_kernel_tIhDF16_vE3runILj1024EEEvmPhPKDF16_PDF16_,@function
_ZN9rocsparse29copy_farray_mix_safe_kernel_tIhDF16_vE3runILj1024EEEvmPhPKDF16_PDF16_: ; @_ZN9rocsparse29copy_farray_mix_safe_kernel_tIhDF16_vE3runILj1024EEEvmPhPKDF16_PDF16_
; %bb.0:
	s_endpgm
	.section	.rodata,"a",@progbits
	.p2align	6, 0x0
	.amdhsa_kernel _ZN9rocsparse29copy_farray_mix_safe_kernel_tIhDF16_vE3runILj1024EEEvmPhPKDF16_PDF16_
		.amdhsa_group_segment_fixed_size 0
		.amdhsa_private_segment_fixed_size 0
		.amdhsa_kernarg_size 32
		.amdhsa_user_sgpr_count 15
		.amdhsa_user_sgpr_dispatch_ptr 0
		.amdhsa_user_sgpr_queue_ptr 0
		.amdhsa_user_sgpr_kernarg_segment_ptr 1
		.amdhsa_user_sgpr_dispatch_id 0
		.amdhsa_user_sgpr_private_segment_size 0
		.amdhsa_wavefront_size32 1
		.amdhsa_uses_dynamic_stack 0
		.amdhsa_enable_private_segment 0
		.amdhsa_system_sgpr_workgroup_id_x 1
		.amdhsa_system_sgpr_workgroup_id_y 0
		.amdhsa_system_sgpr_workgroup_id_z 0
		.amdhsa_system_sgpr_workgroup_info 0
		.amdhsa_system_vgpr_workitem_id 0
		.amdhsa_next_free_vgpr 1
		.amdhsa_next_free_sgpr 1
		.amdhsa_reserve_vcc 0
		.amdhsa_float_round_mode_32 0
		.amdhsa_float_round_mode_16_64 0
		.amdhsa_float_denorm_mode_32 3
		.amdhsa_float_denorm_mode_16_64 3
		.amdhsa_dx10_clamp 1
		.amdhsa_ieee_mode 1
		.amdhsa_fp16_overflow 0
		.amdhsa_workgroup_processor_mode 1
		.amdhsa_memory_ordered 1
		.amdhsa_forward_progress 0
		.amdhsa_shared_vgpr_count 0
		.amdhsa_exception_fp_ieee_invalid_op 0
		.amdhsa_exception_fp_denorm_src 0
		.amdhsa_exception_fp_ieee_div_zero 0
		.amdhsa_exception_fp_ieee_overflow 0
		.amdhsa_exception_fp_ieee_underflow 0
		.amdhsa_exception_fp_ieee_inexact 0
		.amdhsa_exception_int_div_zero 0
	.end_amdhsa_kernel
	.section	.text._ZN9rocsparse29copy_farray_mix_safe_kernel_tIhDF16_vE3runILj1024EEEvmPhPKDF16_PDF16_,"axG",@progbits,_ZN9rocsparse29copy_farray_mix_safe_kernel_tIhDF16_vE3runILj1024EEEvmPhPKDF16_PDF16_,comdat
.Lfunc_end22:
	.size	_ZN9rocsparse29copy_farray_mix_safe_kernel_tIhDF16_vE3runILj1024EEEvmPhPKDF16_PDF16_, .Lfunc_end22-_ZN9rocsparse29copy_farray_mix_safe_kernel_tIhDF16_vE3runILj1024EEEvmPhPKDF16_PDF16_
                                        ; -- End function
	.section	.AMDGPU.csdata,"",@progbits
; Kernel info:
; codeLenInByte = 4
; NumSgprs: 0
; NumVgprs: 0
; ScratchSize: 0
; MemoryBound: 0
; FloatMode: 240
; IeeeMode: 1
; LDSByteSize: 0 bytes/workgroup (compile time only)
; SGPRBlocks: 0
; VGPRBlocks: 0
; NumSGPRsForWavesPerEU: 1
; NumVGPRsForWavesPerEU: 1
; Occupancy: 16
; WaveLimiterHint : 0
; COMPUTE_PGM_RSRC2:SCRATCH_EN: 0
; COMPUTE_PGM_RSRC2:USER_SGPR: 15
; COMPUTE_PGM_RSRC2:TRAP_HANDLER: 0
; COMPUTE_PGM_RSRC2:TGID_X_EN: 1
; COMPUTE_PGM_RSRC2:TGID_Y_EN: 0
; COMPUTE_PGM_RSRC2:TGID_Z_EN: 0
; COMPUTE_PGM_RSRC2:TIDIG_COMP_CNT: 0
	.section	.text._ZN9rocsparse29copy_farray_mix_safe_kernel_tIh18rocsparse_bfloat16vE3runILj1024EEEvmPhPKS1_PS1_,"axG",@progbits,_ZN9rocsparse29copy_farray_mix_safe_kernel_tIh18rocsparse_bfloat16vE3runILj1024EEEvmPhPKS1_PS1_,comdat
	.protected	_ZN9rocsparse29copy_farray_mix_safe_kernel_tIh18rocsparse_bfloat16vE3runILj1024EEEvmPhPKS1_PS1_ ; -- Begin function _ZN9rocsparse29copy_farray_mix_safe_kernel_tIh18rocsparse_bfloat16vE3runILj1024EEEvmPhPKS1_PS1_
	.globl	_ZN9rocsparse29copy_farray_mix_safe_kernel_tIh18rocsparse_bfloat16vE3runILj1024EEEvmPhPKS1_PS1_
	.p2align	8
	.type	_ZN9rocsparse29copy_farray_mix_safe_kernel_tIh18rocsparse_bfloat16vE3runILj1024EEEvmPhPKS1_PS1_,@function
_ZN9rocsparse29copy_farray_mix_safe_kernel_tIh18rocsparse_bfloat16vE3runILj1024EEEvmPhPKS1_PS1_: ; @_ZN9rocsparse29copy_farray_mix_safe_kernel_tIh18rocsparse_bfloat16vE3runILj1024EEEvmPhPKS1_PS1_
; %bb.0:
	s_endpgm
	.section	.rodata,"a",@progbits
	.p2align	6, 0x0
	.amdhsa_kernel _ZN9rocsparse29copy_farray_mix_safe_kernel_tIh18rocsparse_bfloat16vE3runILj1024EEEvmPhPKS1_PS1_
		.amdhsa_group_segment_fixed_size 0
		.amdhsa_private_segment_fixed_size 0
		.amdhsa_kernarg_size 32
		.amdhsa_user_sgpr_count 15
		.amdhsa_user_sgpr_dispatch_ptr 0
		.amdhsa_user_sgpr_queue_ptr 0
		.amdhsa_user_sgpr_kernarg_segment_ptr 1
		.amdhsa_user_sgpr_dispatch_id 0
		.amdhsa_user_sgpr_private_segment_size 0
		.amdhsa_wavefront_size32 1
		.amdhsa_uses_dynamic_stack 0
		.amdhsa_enable_private_segment 0
		.amdhsa_system_sgpr_workgroup_id_x 1
		.amdhsa_system_sgpr_workgroup_id_y 0
		.amdhsa_system_sgpr_workgroup_id_z 0
		.amdhsa_system_sgpr_workgroup_info 0
		.amdhsa_system_vgpr_workitem_id 0
		.amdhsa_next_free_vgpr 1
		.amdhsa_next_free_sgpr 1
		.amdhsa_reserve_vcc 0
		.amdhsa_float_round_mode_32 0
		.amdhsa_float_round_mode_16_64 0
		.amdhsa_float_denorm_mode_32 3
		.amdhsa_float_denorm_mode_16_64 3
		.amdhsa_dx10_clamp 1
		.amdhsa_ieee_mode 1
		.amdhsa_fp16_overflow 0
		.amdhsa_workgroup_processor_mode 1
		.amdhsa_memory_ordered 1
		.amdhsa_forward_progress 0
		.amdhsa_shared_vgpr_count 0
		.amdhsa_exception_fp_ieee_invalid_op 0
		.amdhsa_exception_fp_denorm_src 0
		.amdhsa_exception_fp_ieee_div_zero 0
		.amdhsa_exception_fp_ieee_overflow 0
		.amdhsa_exception_fp_ieee_underflow 0
		.amdhsa_exception_fp_ieee_inexact 0
		.amdhsa_exception_int_div_zero 0
	.end_amdhsa_kernel
	.section	.text._ZN9rocsparse29copy_farray_mix_safe_kernel_tIh18rocsparse_bfloat16vE3runILj1024EEEvmPhPKS1_PS1_,"axG",@progbits,_ZN9rocsparse29copy_farray_mix_safe_kernel_tIh18rocsparse_bfloat16vE3runILj1024EEEvmPhPKS1_PS1_,comdat
.Lfunc_end23:
	.size	_ZN9rocsparse29copy_farray_mix_safe_kernel_tIh18rocsparse_bfloat16vE3runILj1024EEEvmPhPKS1_PS1_, .Lfunc_end23-_ZN9rocsparse29copy_farray_mix_safe_kernel_tIh18rocsparse_bfloat16vE3runILj1024EEEvmPhPKS1_PS1_
                                        ; -- End function
	.section	.AMDGPU.csdata,"",@progbits
; Kernel info:
; codeLenInByte = 4
; NumSgprs: 0
; NumVgprs: 0
; ScratchSize: 0
; MemoryBound: 0
; FloatMode: 240
; IeeeMode: 1
; LDSByteSize: 0 bytes/workgroup (compile time only)
; SGPRBlocks: 0
; VGPRBlocks: 0
; NumSGPRsForWavesPerEU: 1
; NumVGPRsForWavesPerEU: 1
; Occupancy: 16
; WaveLimiterHint : 0
; COMPUTE_PGM_RSRC2:SCRATCH_EN: 0
; COMPUTE_PGM_RSRC2:USER_SGPR: 15
; COMPUTE_PGM_RSRC2:TRAP_HANDLER: 0
; COMPUTE_PGM_RSRC2:TGID_X_EN: 1
; COMPUTE_PGM_RSRC2:TGID_Y_EN: 0
; COMPUTE_PGM_RSRC2:TGID_Z_EN: 0
; COMPUTE_PGM_RSRC2:TIDIG_COMP_CNT: 0
	.section	.text._ZN9rocsparse29copy_farray_mix_safe_kernel_tIhfvE3runILj1024EEEvmPhPKfPf,"axG",@progbits,_ZN9rocsparse29copy_farray_mix_safe_kernel_tIhfvE3runILj1024EEEvmPhPKfPf,comdat
	.protected	_ZN9rocsparse29copy_farray_mix_safe_kernel_tIhfvE3runILj1024EEEvmPhPKfPf ; -- Begin function _ZN9rocsparse29copy_farray_mix_safe_kernel_tIhfvE3runILj1024EEEvmPhPKfPf
	.globl	_ZN9rocsparse29copy_farray_mix_safe_kernel_tIhfvE3runILj1024EEEvmPhPKfPf
	.p2align	8
	.type	_ZN9rocsparse29copy_farray_mix_safe_kernel_tIhfvE3runILj1024EEEvmPhPKfPf,@function
_ZN9rocsparse29copy_farray_mix_safe_kernel_tIhfvE3runILj1024EEEvmPhPKfPf: ; @_ZN9rocsparse29copy_farray_mix_safe_kernel_tIhfvE3runILj1024EEEvmPhPKfPf
; %bb.0:
	s_endpgm
	.section	.rodata,"a",@progbits
	.p2align	6, 0x0
	.amdhsa_kernel _ZN9rocsparse29copy_farray_mix_safe_kernel_tIhfvE3runILj1024EEEvmPhPKfPf
		.amdhsa_group_segment_fixed_size 0
		.amdhsa_private_segment_fixed_size 0
		.amdhsa_kernarg_size 32
		.amdhsa_user_sgpr_count 15
		.amdhsa_user_sgpr_dispatch_ptr 0
		.amdhsa_user_sgpr_queue_ptr 0
		.amdhsa_user_sgpr_kernarg_segment_ptr 1
		.amdhsa_user_sgpr_dispatch_id 0
		.amdhsa_user_sgpr_private_segment_size 0
		.amdhsa_wavefront_size32 1
		.amdhsa_uses_dynamic_stack 0
		.amdhsa_enable_private_segment 0
		.amdhsa_system_sgpr_workgroup_id_x 1
		.amdhsa_system_sgpr_workgroup_id_y 0
		.amdhsa_system_sgpr_workgroup_id_z 0
		.amdhsa_system_sgpr_workgroup_info 0
		.amdhsa_system_vgpr_workitem_id 0
		.amdhsa_next_free_vgpr 1
		.amdhsa_next_free_sgpr 1
		.amdhsa_reserve_vcc 0
		.amdhsa_float_round_mode_32 0
		.amdhsa_float_round_mode_16_64 0
		.amdhsa_float_denorm_mode_32 3
		.amdhsa_float_denorm_mode_16_64 3
		.amdhsa_dx10_clamp 1
		.amdhsa_ieee_mode 1
		.amdhsa_fp16_overflow 0
		.amdhsa_workgroup_processor_mode 1
		.amdhsa_memory_ordered 1
		.amdhsa_forward_progress 0
		.amdhsa_shared_vgpr_count 0
		.amdhsa_exception_fp_ieee_invalid_op 0
		.amdhsa_exception_fp_denorm_src 0
		.amdhsa_exception_fp_ieee_div_zero 0
		.amdhsa_exception_fp_ieee_overflow 0
		.amdhsa_exception_fp_ieee_underflow 0
		.amdhsa_exception_fp_ieee_inexact 0
		.amdhsa_exception_int_div_zero 0
	.end_amdhsa_kernel
	.section	.text._ZN9rocsparse29copy_farray_mix_safe_kernel_tIhfvE3runILj1024EEEvmPhPKfPf,"axG",@progbits,_ZN9rocsparse29copy_farray_mix_safe_kernel_tIhfvE3runILj1024EEEvmPhPKfPf,comdat
.Lfunc_end24:
	.size	_ZN9rocsparse29copy_farray_mix_safe_kernel_tIhfvE3runILj1024EEEvmPhPKfPf, .Lfunc_end24-_ZN9rocsparse29copy_farray_mix_safe_kernel_tIhfvE3runILj1024EEEvmPhPKfPf
                                        ; -- End function
	.section	.AMDGPU.csdata,"",@progbits
; Kernel info:
; codeLenInByte = 4
; NumSgprs: 0
; NumVgprs: 0
; ScratchSize: 0
; MemoryBound: 0
; FloatMode: 240
; IeeeMode: 1
; LDSByteSize: 0 bytes/workgroup (compile time only)
; SGPRBlocks: 0
; VGPRBlocks: 0
; NumSGPRsForWavesPerEU: 1
; NumVGPRsForWavesPerEU: 1
; Occupancy: 16
; WaveLimiterHint : 0
; COMPUTE_PGM_RSRC2:SCRATCH_EN: 0
; COMPUTE_PGM_RSRC2:USER_SGPR: 15
; COMPUTE_PGM_RSRC2:TRAP_HANDLER: 0
; COMPUTE_PGM_RSRC2:TGID_X_EN: 1
; COMPUTE_PGM_RSRC2:TGID_Y_EN: 0
; COMPUTE_PGM_RSRC2:TGID_Z_EN: 0
; COMPUTE_PGM_RSRC2:TIDIG_COMP_CNT: 0
	.section	.text._ZN9rocsparse29copy_farray_mix_safe_kernel_tIhdvE3runILj1024EEEvmPhPKdPd,"axG",@progbits,_ZN9rocsparse29copy_farray_mix_safe_kernel_tIhdvE3runILj1024EEEvmPhPKdPd,comdat
	.protected	_ZN9rocsparse29copy_farray_mix_safe_kernel_tIhdvE3runILj1024EEEvmPhPKdPd ; -- Begin function _ZN9rocsparse29copy_farray_mix_safe_kernel_tIhdvE3runILj1024EEEvmPhPKdPd
	.globl	_ZN9rocsparse29copy_farray_mix_safe_kernel_tIhdvE3runILj1024EEEvmPhPKdPd
	.p2align	8
	.type	_ZN9rocsparse29copy_farray_mix_safe_kernel_tIhdvE3runILj1024EEEvmPhPKdPd,@function
_ZN9rocsparse29copy_farray_mix_safe_kernel_tIhdvE3runILj1024EEEvmPhPKdPd: ; @_ZN9rocsparse29copy_farray_mix_safe_kernel_tIhdvE3runILj1024EEEvmPhPKdPd
; %bb.0:
	s_endpgm
	.section	.rodata,"a",@progbits
	.p2align	6, 0x0
	.amdhsa_kernel _ZN9rocsparse29copy_farray_mix_safe_kernel_tIhdvE3runILj1024EEEvmPhPKdPd
		.amdhsa_group_segment_fixed_size 0
		.amdhsa_private_segment_fixed_size 0
		.amdhsa_kernarg_size 32
		.amdhsa_user_sgpr_count 15
		.amdhsa_user_sgpr_dispatch_ptr 0
		.amdhsa_user_sgpr_queue_ptr 0
		.amdhsa_user_sgpr_kernarg_segment_ptr 1
		.amdhsa_user_sgpr_dispatch_id 0
		.amdhsa_user_sgpr_private_segment_size 0
		.amdhsa_wavefront_size32 1
		.amdhsa_uses_dynamic_stack 0
		.amdhsa_enable_private_segment 0
		.amdhsa_system_sgpr_workgroup_id_x 1
		.amdhsa_system_sgpr_workgroup_id_y 0
		.amdhsa_system_sgpr_workgroup_id_z 0
		.amdhsa_system_sgpr_workgroup_info 0
		.amdhsa_system_vgpr_workitem_id 0
		.amdhsa_next_free_vgpr 1
		.amdhsa_next_free_sgpr 1
		.amdhsa_reserve_vcc 0
		.amdhsa_float_round_mode_32 0
		.amdhsa_float_round_mode_16_64 0
		.amdhsa_float_denorm_mode_32 3
		.amdhsa_float_denorm_mode_16_64 3
		.amdhsa_dx10_clamp 1
		.amdhsa_ieee_mode 1
		.amdhsa_fp16_overflow 0
		.amdhsa_workgroup_processor_mode 1
		.amdhsa_memory_ordered 1
		.amdhsa_forward_progress 0
		.amdhsa_shared_vgpr_count 0
		.amdhsa_exception_fp_ieee_invalid_op 0
		.amdhsa_exception_fp_denorm_src 0
		.amdhsa_exception_fp_ieee_div_zero 0
		.amdhsa_exception_fp_ieee_overflow 0
		.amdhsa_exception_fp_ieee_underflow 0
		.amdhsa_exception_fp_ieee_inexact 0
		.amdhsa_exception_int_div_zero 0
	.end_amdhsa_kernel
	.section	.text._ZN9rocsparse29copy_farray_mix_safe_kernel_tIhdvE3runILj1024EEEvmPhPKdPd,"axG",@progbits,_ZN9rocsparse29copy_farray_mix_safe_kernel_tIhdvE3runILj1024EEEvmPhPKdPd,comdat
.Lfunc_end25:
	.size	_ZN9rocsparse29copy_farray_mix_safe_kernel_tIhdvE3runILj1024EEEvmPhPKdPd, .Lfunc_end25-_ZN9rocsparse29copy_farray_mix_safe_kernel_tIhdvE3runILj1024EEEvmPhPKdPd
                                        ; -- End function
	.section	.AMDGPU.csdata,"",@progbits
; Kernel info:
; codeLenInByte = 4
; NumSgprs: 0
; NumVgprs: 0
; ScratchSize: 0
; MemoryBound: 0
; FloatMode: 240
; IeeeMode: 1
; LDSByteSize: 0 bytes/workgroup (compile time only)
; SGPRBlocks: 0
; VGPRBlocks: 0
; NumSGPRsForWavesPerEU: 1
; NumVGPRsForWavesPerEU: 1
; Occupancy: 16
; WaveLimiterHint : 0
; COMPUTE_PGM_RSRC2:SCRATCH_EN: 0
; COMPUTE_PGM_RSRC2:USER_SGPR: 15
; COMPUTE_PGM_RSRC2:TRAP_HANDLER: 0
; COMPUTE_PGM_RSRC2:TGID_X_EN: 1
; COMPUTE_PGM_RSRC2:TGID_Y_EN: 0
; COMPUTE_PGM_RSRC2:TGID_Z_EN: 0
; COMPUTE_PGM_RSRC2:TIDIG_COMP_CNT: 0
	.section	.text._ZN9rocsparse29copy_farray_mix_safe_kernel_tIh21rocsparse_complex_numIfEvE3runILj1024EEEvmPhPKS2_Pf,"axG",@progbits,_ZN9rocsparse29copy_farray_mix_safe_kernel_tIh21rocsparse_complex_numIfEvE3runILj1024EEEvmPhPKS2_Pf,comdat
	.protected	_ZN9rocsparse29copy_farray_mix_safe_kernel_tIh21rocsparse_complex_numIfEvE3runILj1024EEEvmPhPKS2_Pf ; -- Begin function _ZN9rocsparse29copy_farray_mix_safe_kernel_tIh21rocsparse_complex_numIfEvE3runILj1024EEEvmPhPKS2_Pf
	.globl	_ZN9rocsparse29copy_farray_mix_safe_kernel_tIh21rocsparse_complex_numIfEvE3runILj1024EEEvmPhPKS2_Pf
	.p2align	8
	.type	_ZN9rocsparse29copy_farray_mix_safe_kernel_tIh21rocsparse_complex_numIfEvE3runILj1024EEEvmPhPKS2_Pf,@function
_ZN9rocsparse29copy_farray_mix_safe_kernel_tIh21rocsparse_complex_numIfEvE3runILj1024EEEvmPhPKS2_Pf: ; @_ZN9rocsparse29copy_farray_mix_safe_kernel_tIh21rocsparse_complex_numIfEvE3runILj1024EEEvmPhPKS2_Pf
; %bb.0:
	s_endpgm
	.section	.rodata,"a",@progbits
	.p2align	6, 0x0
	.amdhsa_kernel _ZN9rocsparse29copy_farray_mix_safe_kernel_tIh21rocsparse_complex_numIfEvE3runILj1024EEEvmPhPKS2_Pf
		.amdhsa_group_segment_fixed_size 0
		.amdhsa_private_segment_fixed_size 0
		.amdhsa_kernarg_size 32
		.amdhsa_user_sgpr_count 15
		.amdhsa_user_sgpr_dispatch_ptr 0
		.amdhsa_user_sgpr_queue_ptr 0
		.amdhsa_user_sgpr_kernarg_segment_ptr 1
		.amdhsa_user_sgpr_dispatch_id 0
		.amdhsa_user_sgpr_private_segment_size 0
		.amdhsa_wavefront_size32 1
		.amdhsa_uses_dynamic_stack 0
		.amdhsa_enable_private_segment 0
		.amdhsa_system_sgpr_workgroup_id_x 1
		.amdhsa_system_sgpr_workgroup_id_y 0
		.amdhsa_system_sgpr_workgroup_id_z 0
		.amdhsa_system_sgpr_workgroup_info 0
		.amdhsa_system_vgpr_workitem_id 0
		.amdhsa_next_free_vgpr 1
		.amdhsa_next_free_sgpr 1
		.amdhsa_reserve_vcc 0
		.amdhsa_float_round_mode_32 0
		.amdhsa_float_round_mode_16_64 0
		.amdhsa_float_denorm_mode_32 3
		.amdhsa_float_denorm_mode_16_64 3
		.amdhsa_dx10_clamp 1
		.amdhsa_ieee_mode 1
		.amdhsa_fp16_overflow 0
		.amdhsa_workgroup_processor_mode 1
		.amdhsa_memory_ordered 1
		.amdhsa_forward_progress 0
		.amdhsa_shared_vgpr_count 0
		.amdhsa_exception_fp_ieee_invalid_op 0
		.amdhsa_exception_fp_denorm_src 0
		.amdhsa_exception_fp_ieee_div_zero 0
		.amdhsa_exception_fp_ieee_overflow 0
		.amdhsa_exception_fp_ieee_underflow 0
		.amdhsa_exception_fp_ieee_inexact 0
		.amdhsa_exception_int_div_zero 0
	.end_amdhsa_kernel
	.section	.text._ZN9rocsparse29copy_farray_mix_safe_kernel_tIh21rocsparse_complex_numIfEvE3runILj1024EEEvmPhPKS2_Pf,"axG",@progbits,_ZN9rocsparse29copy_farray_mix_safe_kernel_tIh21rocsparse_complex_numIfEvE3runILj1024EEEvmPhPKS2_Pf,comdat
.Lfunc_end26:
	.size	_ZN9rocsparse29copy_farray_mix_safe_kernel_tIh21rocsparse_complex_numIfEvE3runILj1024EEEvmPhPKS2_Pf, .Lfunc_end26-_ZN9rocsparse29copy_farray_mix_safe_kernel_tIh21rocsparse_complex_numIfEvE3runILj1024EEEvmPhPKS2_Pf
                                        ; -- End function
	.section	.AMDGPU.csdata,"",@progbits
; Kernel info:
; codeLenInByte = 4
; NumSgprs: 0
; NumVgprs: 0
; ScratchSize: 0
; MemoryBound: 0
; FloatMode: 240
; IeeeMode: 1
; LDSByteSize: 0 bytes/workgroup (compile time only)
; SGPRBlocks: 0
; VGPRBlocks: 0
; NumSGPRsForWavesPerEU: 1
; NumVGPRsForWavesPerEU: 1
; Occupancy: 16
; WaveLimiterHint : 0
; COMPUTE_PGM_RSRC2:SCRATCH_EN: 0
; COMPUTE_PGM_RSRC2:USER_SGPR: 15
; COMPUTE_PGM_RSRC2:TRAP_HANDLER: 0
; COMPUTE_PGM_RSRC2:TGID_X_EN: 1
; COMPUTE_PGM_RSRC2:TGID_Y_EN: 0
; COMPUTE_PGM_RSRC2:TGID_Z_EN: 0
; COMPUTE_PGM_RSRC2:TIDIG_COMP_CNT: 0
	.section	.text._ZN9rocsparse29copy_farray_mix_safe_kernel_tIh21rocsparse_complex_numIdEvE3runILj1024EEEvmPhPKS2_Pd,"axG",@progbits,_ZN9rocsparse29copy_farray_mix_safe_kernel_tIh21rocsparse_complex_numIdEvE3runILj1024EEEvmPhPKS2_Pd,comdat
	.protected	_ZN9rocsparse29copy_farray_mix_safe_kernel_tIh21rocsparse_complex_numIdEvE3runILj1024EEEvmPhPKS2_Pd ; -- Begin function _ZN9rocsparse29copy_farray_mix_safe_kernel_tIh21rocsparse_complex_numIdEvE3runILj1024EEEvmPhPKS2_Pd
	.globl	_ZN9rocsparse29copy_farray_mix_safe_kernel_tIh21rocsparse_complex_numIdEvE3runILj1024EEEvmPhPKS2_Pd
	.p2align	8
	.type	_ZN9rocsparse29copy_farray_mix_safe_kernel_tIh21rocsparse_complex_numIdEvE3runILj1024EEEvmPhPKS2_Pd,@function
_ZN9rocsparse29copy_farray_mix_safe_kernel_tIh21rocsparse_complex_numIdEvE3runILj1024EEEvmPhPKS2_Pd: ; @_ZN9rocsparse29copy_farray_mix_safe_kernel_tIh21rocsparse_complex_numIdEvE3runILj1024EEEvmPhPKS2_Pd
; %bb.0:
	s_endpgm
	.section	.rodata,"a",@progbits
	.p2align	6, 0x0
	.amdhsa_kernel _ZN9rocsparse29copy_farray_mix_safe_kernel_tIh21rocsparse_complex_numIdEvE3runILj1024EEEvmPhPKS2_Pd
		.amdhsa_group_segment_fixed_size 0
		.amdhsa_private_segment_fixed_size 0
		.amdhsa_kernarg_size 32
		.amdhsa_user_sgpr_count 15
		.amdhsa_user_sgpr_dispatch_ptr 0
		.amdhsa_user_sgpr_queue_ptr 0
		.amdhsa_user_sgpr_kernarg_segment_ptr 1
		.amdhsa_user_sgpr_dispatch_id 0
		.amdhsa_user_sgpr_private_segment_size 0
		.amdhsa_wavefront_size32 1
		.amdhsa_uses_dynamic_stack 0
		.amdhsa_enable_private_segment 0
		.amdhsa_system_sgpr_workgroup_id_x 1
		.amdhsa_system_sgpr_workgroup_id_y 0
		.amdhsa_system_sgpr_workgroup_id_z 0
		.amdhsa_system_sgpr_workgroup_info 0
		.amdhsa_system_vgpr_workitem_id 0
		.amdhsa_next_free_vgpr 1
		.amdhsa_next_free_sgpr 1
		.amdhsa_reserve_vcc 0
		.amdhsa_float_round_mode_32 0
		.amdhsa_float_round_mode_16_64 0
		.amdhsa_float_denorm_mode_32 3
		.amdhsa_float_denorm_mode_16_64 3
		.amdhsa_dx10_clamp 1
		.amdhsa_ieee_mode 1
		.amdhsa_fp16_overflow 0
		.amdhsa_workgroup_processor_mode 1
		.amdhsa_memory_ordered 1
		.amdhsa_forward_progress 0
		.amdhsa_shared_vgpr_count 0
		.amdhsa_exception_fp_ieee_invalid_op 0
		.amdhsa_exception_fp_denorm_src 0
		.amdhsa_exception_fp_ieee_div_zero 0
		.amdhsa_exception_fp_ieee_overflow 0
		.amdhsa_exception_fp_ieee_underflow 0
		.amdhsa_exception_fp_ieee_inexact 0
		.amdhsa_exception_int_div_zero 0
	.end_amdhsa_kernel
	.section	.text._ZN9rocsparse29copy_farray_mix_safe_kernel_tIh21rocsparse_complex_numIdEvE3runILj1024EEEvmPhPKS2_Pd,"axG",@progbits,_ZN9rocsparse29copy_farray_mix_safe_kernel_tIh21rocsparse_complex_numIdEvE3runILj1024EEEvmPhPKS2_Pd,comdat
.Lfunc_end27:
	.size	_ZN9rocsparse29copy_farray_mix_safe_kernel_tIh21rocsparse_complex_numIdEvE3runILj1024EEEvmPhPKS2_Pd, .Lfunc_end27-_ZN9rocsparse29copy_farray_mix_safe_kernel_tIh21rocsparse_complex_numIdEvE3runILj1024EEEvmPhPKS2_Pd
                                        ; -- End function
	.section	.AMDGPU.csdata,"",@progbits
; Kernel info:
; codeLenInByte = 4
; NumSgprs: 0
; NumVgprs: 0
; ScratchSize: 0
; MemoryBound: 0
; FloatMode: 240
; IeeeMode: 1
; LDSByteSize: 0 bytes/workgroup (compile time only)
; SGPRBlocks: 0
; VGPRBlocks: 0
; NumSGPRsForWavesPerEU: 1
; NumVGPRsForWavesPerEU: 1
; Occupancy: 16
; WaveLimiterHint : 0
; COMPUTE_PGM_RSRC2:SCRATCH_EN: 0
; COMPUTE_PGM_RSRC2:USER_SGPR: 15
; COMPUTE_PGM_RSRC2:TRAP_HANDLER: 0
; COMPUTE_PGM_RSRC2:TGID_X_EN: 1
; COMPUTE_PGM_RSRC2:TGID_Y_EN: 0
; COMPUTE_PGM_RSRC2:TGID_Z_EN: 0
; COMPUTE_PGM_RSRC2:TIDIG_COMP_CNT: 0
	.section	.text._ZN9rocsparse29copy_farray_mix_safe_kernel_tIiavE3runILj1024EEEvmPiPKaPa,"axG",@progbits,_ZN9rocsparse29copy_farray_mix_safe_kernel_tIiavE3runILj1024EEEvmPiPKaPa,comdat
	.protected	_ZN9rocsparse29copy_farray_mix_safe_kernel_tIiavE3runILj1024EEEvmPiPKaPa ; -- Begin function _ZN9rocsparse29copy_farray_mix_safe_kernel_tIiavE3runILj1024EEEvmPiPKaPa
	.globl	_ZN9rocsparse29copy_farray_mix_safe_kernel_tIiavE3runILj1024EEEvmPiPKaPa
	.p2align	8
	.type	_ZN9rocsparse29copy_farray_mix_safe_kernel_tIiavE3runILj1024EEEvmPiPKaPa,@function
_ZN9rocsparse29copy_farray_mix_safe_kernel_tIiavE3runILj1024EEEvmPiPKaPa: ; @_ZN9rocsparse29copy_farray_mix_safe_kernel_tIiavE3runILj1024EEEvmPiPKaPa
; %bb.0:
	s_endpgm
	.section	.rodata,"a",@progbits
	.p2align	6, 0x0
	.amdhsa_kernel _ZN9rocsparse29copy_farray_mix_safe_kernel_tIiavE3runILj1024EEEvmPiPKaPa
		.amdhsa_group_segment_fixed_size 0
		.amdhsa_private_segment_fixed_size 0
		.amdhsa_kernarg_size 32
		.amdhsa_user_sgpr_count 15
		.amdhsa_user_sgpr_dispatch_ptr 0
		.amdhsa_user_sgpr_queue_ptr 0
		.amdhsa_user_sgpr_kernarg_segment_ptr 1
		.amdhsa_user_sgpr_dispatch_id 0
		.amdhsa_user_sgpr_private_segment_size 0
		.amdhsa_wavefront_size32 1
		.amdhsa_uses_dynamic_stack 0
		.amdhsa_enable_private_segment 0
		.amdhsa_system_sgpr_workgroup_id_x 1
		.amdhsa_system_sgpr_workgroup_id_y 0
		.amdhsa_system_sgpr_workgroup_id_z 0
		.amdhsa_system_sgpr_workgroup_info 0
		.amdhsa_system_vgpr_workitem_id 0
		.amdhsa_next_free_vgpr 1
		.amdhsa_next_free_sgpr 1
		.amdhsa_reserve_vcc 0
		.amdhsa_float_round_mode_32 0
		.amdhsa_float_round_mode_16_64 0
		.amdhsa_float_denorm_mode_32 3
		.amdhsa_float_denorm_mode_16_64 3
		.amdhsa_dx10_clamp 1
		.amdhsa_ieee_mode 1
		.amdhsa_fp16_overflow 0
		.amdhsa_workgroup_processor_mode 1
		.amdhsa_memory_ordered 1
		.amdhsa_forward_progress 0
		.amdhsa_shared_vgpr_count 0
		.amdhsa_exception_fp_ieee_invalid_op 0
		.amdhsa_exception_fp_denorm_src 0
		.amdhsa_exception_fp_ieee_div_zero 0
		.amdhsa_exception_fp_ieee_overflow 0
		.amdhsa_exception_fp_ieee_underflow 0
		.amdhsa_exception_fp_ieee_inexact 0
		.amdhsa_exception_int_div_zero 0
	.end_amdhsa_kernel
	.section	.text._ZN9rocsparse29copy_farray_mix_safe_kernel_tIiavE3runILj1024EEEvmPiPKaPa,"axG",@progbits,_ZN9rocsparse29copy_farray_mix_safe_kernel_tIiavE3runILj1024EEEvmPiPKaPa,comdat
.Lfunc_end28:
	.size	_ZN9rocsparse29copy_farray_mix_safe_kernel_tIiavE3runILj1024EEEvmPiPKaPa, .Lfunc_end28-_ZN9rocsparse29copy_farray_mix_safe_kernel_tIiavE3runILj1024EEEvmPiPKaPa
                                        ; -- End function
	.section	.AMDGPU.csdata,"",@progbits
; Kernel info:
; codeLenInByte = 4
; NumSgprs: 0
; NumVgprs: 0
; ScratchSize: 0
; MemoryBound: 0
; FloatMode: 240
; IeeeMode: 1
; LDSByteSize: 0 bytes/workgroup (compile time only)
; SGPRBlocks: 0
; VGPRBlocks: 0
; NumSGPRsForWavesPerEU: 1
; NumVGPRsForWavesPerEU: 1
; Occupancy: 16
; WaveLimiterHint : 0
; COMPUTE_PGM_RSRC2:SCRATCH_EN: 0
; COMPUTE_PGM_RSRC2:USER_SGPR: 15
; COMPUTE_PGM_RSRC2:TRAP_HANDLER: 0
; COMPUTE_PGM_RSRC2:TGID_X_EN: 1
; COMPUTE_PGM_RSRC2:TGID_Y_EN: 0
; COMPUTE_PGM_RSRC2:TGID_Z_EN: 0
; COMPUTE_PGM_RSRC2:TIDIG_COMP_CNT: 0
	.section	.text._ZN9rocsparse29copy_farray_mix_safe_kernel_tIihvE3runILj1024EEEvmPiPKhPh,"axG",@progbits,_ZN9rocsparse29copy_farray_mix_safe_kernel_tIihvE3runILj1024EEEvmPiPKhPh,comdat
	.protected	_ZN9rocsparse29copy_farray_mix_safe_kernel_tIihvE3runILj1024EEEvmPiPKhPh ; -- Begin function _ZN9rocsparse29copy_farray_mix_safe_kernel_tIihvE3runILj1024EEEvmPiPKhPh
	.globl	_ZN9rocsparse29copy_farray_mix_safe_kernel_tIihvE3runILj1024EEEvmPiPKhPh
	.p2align	8
	.type	_ZN9rocsparse29copy_farray_mix_safe_kernel_tIihvE3runILj1024EEEvmPiPKhPh,@function
_ZN9rocsparse29copy_farray_mix_safe_kernel_tIihvE3runILj1024EEEvmPiPKhPh: ; @_ZN9rocsparse29copy_farray_mix_safe_kernel_tIihvE3runILj1024EEEvmPiPKhPh
; %bb.0:
	s_endpgm
	.section	.rodata,"a",@progbits
	.p2align	6, 0x0
	.amdhsa_kernel _ZN9rocsparse29copy_farray_mix_safe_kernel_tIihvE3runILj1024EEEvmPiPKhPh
		.amdhsa_group_segment_fixed_size 0
		.amdhsa_private_segment_fixed_size 0
		.amdhsa_kernarg_size 32
		.amdhsa_user_sgpr_count 15
		.amdhsa_user_sgpr_dispatch_ptr 0
		.amdhsa_user_sgpr_queue_ptr 0
		.amdhsa_user_sgpr_kernarg_segment_ptr 1
		.amdhsa_user_sgpr_dispatch_id 0
		.amdhsa_user_sgpr_private_segment_size 0
		.amdhsa_wavefront_size32 1
		.amdhsa_uses_dynamic_stack 0
		.amdhsa_enable_private_segment 0
		.amdhsa_system_sgpr_workgroup_id_x 1
		.amdhsa_system_sgpr_workgroup_id_y 0
		.amdhsa_system_sgpr_workgroup_id_z 0
		.amdhsa_system_sgpr_workgroup_info 0
		.amdhsa_system_vgpr_workitem_id 0
		.amdhsa_next_free_vgpr 1
		.amdhsa_next_free_sgpr 1
		.amdhsa_reserve_vcc 0
		.amdhsa_float_round_mode_32 0
		.amdhsa_float_round_mode_16_64 0
		.amdhsa_float_denorm_mode_32 3
		.amdhsa_float_denorm_mode_16_64 3
		.amdhsa_dx10_clamp 1
		.amdhsa_ieee_mode 1
		.amdhsa_fp16_overflow 0
		.amdhsa_workgroup_processor_mode 1
		.amdhsa_memory_ordered 1
		.amdhsa_forward_progress 0
		.amdhsa_shared_vgpr_count 0
		.amdhsa_exception_fp_ieee_invalid_op 0
		.amdhsa_exception_fp_denorm_src 0
		.amdhsa_exception_fp_ieee_div_zero 0
		.amdhsa_exception_fp_ieee_overflow 0
		.amdhsa_exception_fp_ieee_underflow 0
		.amdhsa_exception_fp_ieee_inexact 0
		.amdhsa_exception_int_div_zero 0
	.end_amdhsa_kernel
	.section	.text._ZN9rocsparse29copy_farray_mix_safe_kernel_tIihvE3runILj1024EEEvmPiPKhPh,"axG",@progbits,_ZN9rocsparse29copy_farray_mix_safe_kernel_tIihvE3runILj1024EEEvmPiPKhPh,comdat
.Lfunc_end29:
	.size	_ZN9rocsparse29copy_farray_mix_safe_kernel_tIihvE3runILj1024EEEvmPiPKhPh, .Lfunc_end29-_ZN9rocsparse29copy_farray_mix_safe_kernel_tIihvE3runILj1024EEEvmPiPKhPh
                                        ; -- End function
	.section	.AMDGPU.csdata,"",@progbits
; Kernel info:
; codeLenInByte = 4
; NumSgprs: 0
; NumVgprs: 0
; ScratchSize: 0
; MemoryBound: 0
; FloatMode: 240
; IeeeMode: 1
; LDSByteSize: 0 bytes/workgroup (compile time only)
; SGPRBlocks: 0
; VGPRBlocks: 0
; NumSGPRsForWavesPerEU: 1
; NumVGPRsForWavesPerEU: 1
; Occupancy: 16
; WaveLimiterHint : 0
; COMPUTE_PGM_RSRC2:SCRATCH_EN: 0
; COMPUTE_PGM_RSRC2:USER_SGPR: 15
; COMPUTE_PGM_RSRC2:TRAP_HANDLER: 0
; COMPUTE_PGM_RSRC2:TGID_X_EN: 1
; COMPUTE_PGM_RSRC2:TGID_Y_EN: 0
; COMPUTE_PGM_RSRC2:TGID_Z_EN: 0
; COMPUTE_PGM_RSRC2:TIDIG_COMP_CNT: 0
	.section	.text._ZN9rocsparse29copy_farray_mix_safe_kernel_tIiivE3runILj1024EEEvmPiPKiS3_,"axG",@progbits,_ZN9rocsparse29copy_farray_mix_safe_kernel_tIiivE3runILj1024EEEvmPiPKiS3_,comdat
	.protected	_ZN9rocsparse29copy_farray_mix_safe_kernel_tIiivE3runILj1024EEEvmPiPKiS3_ ; -- Begin function _ZN9rocsparse29copy_farray_mix_safe_kernel_tIiivE3runILj1024EEEvmPiPKiS3_
	.globl	_ZN9rocsparse29copy_farray_mix_safe_kernel_tIiivE3runILj1024EEEvmPiPKiS3_
	.p2align	8
	.type	_ZN9rocsparse29copy_farray_mix_safe_kernel_tIiivE3runILj1024EEEvmPiPKiS3_,@function
_ZN9rocsparse29copy_farray_mix_safe_kernel_tIiivE3runILj1024EEEvmPiPKiS3_: ; @_ZN9rocsparse29copy_farray_mix_safe_kernel_tIiivE3runILj1024EEEvmPiPKiS3_
; %bb.0:
	s_load_b128 s[4:7], s[0:1], 0x0
	v_lshl_or_b32 v0, s15, 10, v0
	v_mov_b32_e32 v1, 0
	s_mov_b32 s2, exec_lo
	s_waitcnt lgkmcnt(0)
	s_delay_alu instid0(VALU_DEP_1)
	v_cmpx_gt_u64_e64 s[4:5], v[0:1]
	s_cbranch_execz .LBB30_2
; %bb.1:
	s_load_b64 s[0:1], s[0:1], 0x10
	v_lshlrev_b64 v[0:1], 2, v[0:1]
	s_waitcnt lgkmcnt(0)
	s_delay_alu instid0(VALU_DEP_1) | instskip(NEXT) | instid1(VALU_DEP_2)
	v_add_co_u32 v2, vcc_lo, s0, v0
	v_add_co_ci_u32_e32 v3, vcc_lo, s1, v1, vcc_lo
	v_add_co_u32 v0, vcc_lo, s6, v0
	v_add_co_ci_u32_e32 v1, vcc_lo, s7, v1, vcc_lo
	global_load_b32 v2, v[2:3], off
	s_waitcnt vmcnt(0)
	global_store_b32 v[0:1], v2, off
.LBB30_2:
	s_nop 0
	s_sendmsg sendmsg(MSG_DEALLOC_VGPRS)
	s_endpgm
	.section	.rodata,"a",@progbits
	.p2align	6, 0x0
	.amdhsa_kernel _ZN9rocsparse29copy_farray_mix_safe_kernel_tIiivE3runILj1024EEEvmPiPKiS3_
		.amdhsa_group_segment_fixed_size 0
		.amdhsa_private_segment_fixed_size 0
		.amdhsa_kernarg_size 32
		.amdhsa_user_sgpr_count 15
		.amdhsa_user_sgpr_dispatch_ptr 0
		.amdhsa_user_sgpr_queue_ptr 0
		.amdhsa_user_sgpr_kernarg_segment_ptr 1
		.amdhsa_user_sgpr_dispatch_id 0
		.amdhsa_user_sgpr_private_segment_size 0
		.amdhsa_wavefront_size32 1
		.amdhsa_uses_dynamic_stack 0
		.amdhsa_enable_private_segment 0
		.amdhsa_system_sgpr_workgroup_id_x 1
		.amdhsa_system_sgpr_workgroup_id_y 0
		.amdhsa_system_sgpr_workgroup_id_z 0
		.amdhsa_system_sgpr_workgroup_info 0
		.amdhsa_system_vgpr_workitem_id 0
		.amdhsa_next_free_vgpr 4
		.amdhsa_next_free_sgpr 16
		.amdhsa_reserve_vcc 1
		.amdhsa_float_round_mode_32 0
		.amdhsa_float_round_mode_16_64 0
		.amdhsa_float_denorm_mode_32 3
		.amdhsa_float_denorm_mode_16_64 3
		.amdhsa_dx10_clamp 1
		.amdhsa_ieee_mode 1
		.amdhsa_fp16_overflow 0
		.amdhsa_workgroup_processor_mode 1
		.amdhsa_memory_ordered 1
		.amdhsa_forward_progress 0
		.amdhsa_shared_vgpr_count 0
		.amdhsa_exception_fp_ieee_invalid_op 0
		.amdhsa_exception_fp_denorm_src 0
		.amdhsa_exception_fp_ieee_div_zero 0
		.amdhsa_exception_fp_ieee_overflow 0
		.amdhsa_exception_fp_ieee_underflow 0
		.amdhsa_exception_fp_ieee_inexact 0
		.amdhsa_exception_int_div_zero 0
	.end_amdhsa_kernel
	.section	.text._ZN9rocsparse29copy_farray_mix_safe_kernel_tIiivE3runILj1024EEEvmPiPKiS3_,"axG",@progbits,_ZN9rocsparse29copy_farray_mix_safe_kernel_tIiivE3runILj1024EEEvmPiPKiS3_,comdat
.Lfunc_end30:
	.size	_ZN9rocsparse29copy_farray_mix_safe_kernel_tIiivE3runILj1024EEEvmPiPKiS3_, .Lfunc_end30-_ZN9rocsparse29copy_farray_mix_safe_kernel_tIiivE3runILj1024EEEvmPiPKiS3_
                                        ; -- End function
	.section	.AMDGPU.csdata,"",@progbits
; Kernel info:
; codeLenInByte = 124
; NumSgprs: 18
; NumVgprs: 4
; ScratchSize: 0
; MemoryBound: 0
; FloatMode: 240
; IeeeMode: 1
; LDSByteSize: 0 bytes/workgroup (compile time only)
; SGPRBlocks: 2
; VGPRBlocks: 0
; NumSGPRsForWavesPerEU: 18
; NumVGPRsForWavesPerEU: 4
; Occupancy: 16
; WaveLimiterHint : 0
; COMPUTE_PGM_RSRC2:SCRATCH_EN: 0
; COMPUTE_PGM_RSRC2:USER_SGPR: 15
; COMPUTE_PGM_RSRC2:TRAP_HANDLER: 0
; COMPUTE_PGM_RSRC2:TGID_X_EN: 1
; COMPUTE_PGM_RSRC2:TGID_Y_EN: 0
; COMPUTE_PGM_RSRC2:TGID_Z_EN: 0
; COMPUTE_PGM_RSRC2:TIDIG_COMP_CNT: 0
	.section	.text._ZN9rocsparse29copy_farray_mix_safe_kernel_tIijvE3runILj1024EEEvmPiPKjPj,"axG",@progbits,_ZN9rocsparse29copy_farray_mix_safe_kernel_tIijvE3runILj1024EEEvmPiPKjPj,comdat
	.protected	_ZN9rocsparse29copy_farray_mix_safe_kernel_tIijvE3runILj1024EEEvmPiPKjPj ; -- Begin function _ZN9rocsparse29copy_farray_mix_safe_kernel_tIijvE3runILj1024EEEvmPiPKjPj
	.globl	_ZN9rocsparse29copy_farray_mix_safe_kernel_tIijvE3runILj1024EEEvmPiPKjPj
	.p2align	8
	.type	_ZN9rocsparse29copy_farray_mix_safe_kernel_tIijvE3runILj1024EEEvmPiPKjPj,@function
_ZN9rocsparse29copy_farray_mix_safe_kernel_tIijvE3runILj1024EEEvmPiPKjPj: ; @_ZN9rocsparse29copy_farray_mix_safe_kernel_tIijvE3runILj1024EEEvmPiPKjPj
; %bb.0:
	s_endpgm
	.section	.rodata,"a",@progbits
	.p2align	6, 0x0
	.amdhsa_kernel _ZN9rocsparse29copy_farray_mix_safe_kernel_tIijvE3runILj1024EEEvmPiPKjPj
		.amdhsa_group_segment_fixed_size 0
		.amdhsa_private_segment_fixed_size 0
		.amdhsa_kernarg_size 32
		.amdhsa_user_sgpr_count 15
		.amdhsa_user_sgpr_dispatch_ptr 0
		.amdhsa_user_sgpr_queue_ptr 0
		.amdhsa_user_sgpr_kernarg_segment_ptr 1
		.amdhsa_user_sgpr_dispatch_id 0
		.amdhsa_user_sgpr_private_segment_size 0
		.amdhsa_wavefront_size32 1
		.amdhsa_uses_dynamic_stack 0
		.amdhsa_enable_private_segment 0
		.amdhsa_system_sgpr_workgroup_id_x 1
		.amdhsa_system_sgpr_workgroup_id_y 0
		.amdhsa_system_sgpr_workgroup_id_z 0
		.amdhsa_system_sgpr_workgroup_info 0
		.amdhsa_system_vgpr_workitem_id 0
		.amdhsa_next_free_vgpr 1
		.amdhsa_next_free_sgpr 1
		.amdhsa_reserve_vcc 0
		.amdhsa_float_round_mode_32 0
		.amdhsa_float_round_mode_16_64 0
		.amdhsa_float_denorm_mode_32 3
		.amdhsa_float_denorm_mode_16_64 3
		.amdhsa_dx10_clamp 1
		.amdhsa_ieee_mode 1
		.amdhsa_fp16_overflow 0
		.amdhsa_workgroup_processor_mode 1
		.amdhsa_memory_ordered 1
		.amdhsa_forward_progress 0
		.amdhsa_shared_vgpr_count 0
		.amdhsa_exception_fp_ieee_invalid_op 0
		.amdhsa_exception_fp_denorm_src 0
		.amdhsa_exception_fp_ieee_div_zero 0
		.amdhsa_exception_fp_ieee_overflow 0
		.amdhsa_exception_fp_ieee_underflow 0
		.amdhsa_exception_fp_ieee_inexact 0
		.amdhsa_exception_int_div_zero 0
	.end_amdhsa_kernel
	.section	.text._ZN9rocsparse29copy_farray_mix_safe_kernel_tIijvE3runILj1024EEEvmPiPKjPj,"axG",@progbits,_ZN9rocsparse29copy_farray_mix_safe_kernel_tIijvE3runILj1024EEEvmPiPKjPj,comdat
.Lfunc_end31:
	.size	_ZN9rocsparse29copy_farray_mix_safe_kernel_tIijvE3runILj1024EEEvmPiPKjPj, .Lfunc_end31-_ZN9rocsparse29copy_farray_mix_safe_kernel_tIijvE3runILj1024EEEvmPiPKjPj
                                        ; -- End function
	.section	.AMDGPU.csdata,"",@progbits
; Kernel info:
; codeLenInByte = 4
; NumSgprs: 0
; NumVgprs: 0
; ScratchSize: 0
; MemoryBound: 0
; FloatMode: 240
; IeeeMode: 1
; LDSByteSize: 0 bytes/workgroup (compile time only)
; SGPRBlocks: 0
; VGPRBlocks: 0
; NumSGPRsForWavesPerEU: 1
; NumVGPRsForWavesPerEU: 1
; Occupancy: 16
; WaveLimiterHint : 0
; COMPUTE_PGM_RSRC2:SCRATCH_EN: 0
; COMPUTE_PGM_RSRC2:USER_SGPR: 15
; COMPUTE_PGM_RSRC2:TRAP_HANDLER: 0
; COMPUTE_PGM_RSRC2:TGID_X_EN: 1
; COMPUTE_PGM_RSRC2:TGID_Y_EN: 0
; COMPUTE_PGM_RSRC2:TGID_Z_EN: 0
; COMPUTE_PGM_RSRC2:TIDIG_COMP_CNT: 0
	.section	.text._ZN9rocsparse29copy_farray_mix_safe_kernel_tIiDF16_vE3runILj1024EEEvmPiPKDF16_PDF16_,"axG",@progbits,_ZN9rocsparse29copy_farray_mix_safe_kernel_tIiDF16_vE3runILj1024EEEvmPiPKDF16_PDF16_,comdat
	.protected	_ZN9rocsparse29copy_farray_mix_safe_kernel_tIiDF16_vE3runILj1024EEEvmPiPKDF16_PDF16_ ; -- Begin function _ZN9rocsparse29copy_farray_mix_safe_kernel_tIiDF16_vE3runILj1024EEEvmPiPKDF16_PDF16_
	.globl	_ZN9rocsparse29copy_farray_mix_safe_kernel_tIiDF16_vE3runILj1024EEEvmPiPKDF16_PDF16_
	.p2align	8
	.type	_ZN9rocsparse29copy_farray_mix_safe_kernel_tIiDF16_vE3runILj1024EEEvmPiPKDF16_PDF16_,@function
_ZN9rocsparse29copy_farray_mix_safe_kernel_tIiDF16_vE3runILj1024EEEvmPiPKDF16_PDF16_: ; @_ZN9rocsparse29copy_farray_mix_safe_kernel_tIiDF16_vE3runILj1024EEEvmPiPKDF16_PDF16_
; %bb.0:
	s_endpgm
	.section	.rodata,"a",@progbits
	.p2align	6, 0x0
	.amdhsa_kernel _ZN9rocsparse29copy_farray_mix_safe_kernel_tIiDF16_vE3runILj1024EEEvmPiPKDF16_PDF16_
		.amdhsa_group_segment_fixed_size 0
		.amdhsa_private_segment_fixed_size 0
		.amdhsa_kernarg_size 32
		.amdhsa_user_sgpr_count 15
		.amdhsa_user_sgpr_dispatch_ptr 0
		.amdhsa_user_sgpr_queue_ptr 0
		.amdhsa_user_sgpr_kernarg_segment_ptr 1
		.amdhsa_user_sgpr_dispatch_id 0
		.amdhsa_user_sgpr_private_segment_size 0
		.amdhsa_wavefront_size32 1
		.amdhsa_uses_dynamic_stack 0
		.amdhsa_enable_private_segment 0
		.amdhsa_system_sgpr_workgroup_id_x 1
		.amdhsa_system_sgpr_workgroup_id_y 0
		.amdhsa_system_sgpr_workgroup_id_z 0
		.amdhsa_system_sgpr_workgroup_info 0
		.amdhsa_system_vgpr_workitem_id 0
		.amdhsa_next_free_vgpr 1
		.amdhsa_next_free_sgpr 1
		.amdhsa_reserve_vcc 0
		.amdhsa_float_round_mode_32 0
		.amdhsa_float_round_mode_16_64 0
		.amdhsa_float_denorm_mode_32 3
		.amdhsa_float_denorm_mode_16_64 3
		.amdhsa_dx10_clamp 1
		.amdhsa_ieee_mode 1
		.amdhsa_fp16_overflow 0
		.amdhsa_workgroup_processor_mode 1
		.amdhsa_memory_ordered 1
		.amdhsa_forward_progress 0
		.amdhsa_shared_vgpr_count 0
		.amdhsa_exception_fp_ieee_invalid_op 0
		.amdhsa_exception_fp_denorm_src 0
		.amdhsa_exception_fp_ieee_div_zero 0
		.amdhsa_exception_fp_ieee_overflow 0
		.amdhsa_exception_fp_ieee_underflow 0
		.amdhsa_exception_fp_ieee_inexact 0
		.amdhsa_exception_int_div_zero 0
	.end_amdhsa_kernel
	.section	.text._ZN9rocsparse29copy_farray_mix_safe_kernel_tIiDF16_vE3runILj1024EEEvmPiPKDF16_PDF16_,"axG",@progbits,_ZN9rocsparse29copy_farray_mix_safe_kernel_tIiDF16_vE3runILj1024EEEvmPiPKDF16_PDF16_,comdat
.Lfunc_end32:
	.size	_ZN9rocsparse29copy_farray_mix_safe_kernel_tIiDF16_vE3runILj1024EEEvmPiPKDF16_PDF16_, .Lfunc_end32-_ZN9rocsparse29copy_farray_mix_safe_kernel_tIiDF16_vE3runILj1024EEEvmPiPKDF16_PDF16_
                                        ; -- End function
	.section	.AMDGPU.csdata,"",@progbits
; Kernel info:
; codeLenInByte = 4
; NumSgprs: 0
; NumVgprs: 0
; ScratchSize: 0
; MemoryBound: 0
; FloatMode: 240
; IeeeMode: 1
; LDSByteSize: 0 bytes/workgroup (compile time only)
; SGPRBlocks: 0
; VGPRBlocks: 0
; NumSGPRsForWavesPerEU: 1
; NumVGPRsForWavesPerEU: 1
; Occupancy: 16
; WaveLimiterHint : 0
; COMPUTE_PGM_RSRC2:SCRATCH_EN: 0
; COMPUTE_PGM_RSRC2:USER_SGPR: 15
; COMPUTE_PGM_RSRC2:TRAP_HANDLER: 0
; COMPUTE_PGM_RSRC2:TGID_X_EN: 1
; COMPUTE_PGM_RSRC2:TGID_Y_EN: 0
; COMPUTE_PGM_RSRC2:TGID_Z_EN: 0
; COMPUTE_PGM_RSRC2:TIDIG_COMP_CNT: 0
	.section	.text._ZN9rocsparse29copy_farray_mix_safe_kernel_tIi18rocsparse_bfloat16vE3runILj1024EEEvmPiPKS1_PS1_,"axG",@progbits,_ZN9rocsparse29copy_farray_mix_safe_kernel_tIi18rocsparse_bfloat16vE3runILj1024EEEvmPiPKS1_PS1_,comdat
	.protected	_ZN9rocsparse29copy_farray_mix_safe_kernel_tIi18rocsparse_bfloat16vE3runILj1024EEEvmPiPKS1_PS1_ ; -- Begin function _ZN9rocsparse29copy_farray_mix_safe_kernel_tIi18rocsparse_bfloat16vE3runILj1024EEEvmPiPKS1_PS1_
	.globl	_ZN9rocsparse29copy_farray_mix_safe_kernel_tIi18rocsparse_bfloat16vE3runILj1024EEEvmPiPKS1_PS1_
	.p2align	8
	.type	_ZN9rocsparse29copy_farray_mix_safe_kernel_tIi18rocsparse_bfloat16vE3runILj1024EEEvmPiPKS1_PS1_,@function
_ZN9rocsparse29copy_farray_mix_safe_kernel_tIi18rocsparse_bfloat16vE3runILj1024EEEvmPiPKS1_PS1_: ; @_ZN9rocsparse29copy_farray_mix_safe_kernel_tIi18rocsparse_bfloat16vE3runILj1024EEEvmPiPKS1_PS1_
; %bb.0:
	s_endpgm
	.section	.rodata,"a",@progbits
	.p2align	6, 0x0
	.amdhsa_kernel _ZN9rocsparse29copy_farray_mix_safe_kernel_tIi18rocsparse_bfloat16vE3runILj1024EEEvmPiPKS1_PS1_
		.amdhsa_group_segment_fixed_size 0
		.amdhsa_private_segment_fixed_size 0
		.amdhsa_kernarg_size 32
		.amdhsa_user_sgpr_count 15
		.amdhsa_user_sgpr_dispatch_ptr 0
		.amdhsa_user_sgpr_queue_ptr 0
		.amdhsa_user_sgpr_kernarg_segment_ptr 1
		.amdhsa_user_sgpr_dispatch_id 0
		.amdhsa_user_sgpr_private_segment_size 0
		.amdhsa_wavefront_size32 1
		.amdhsa_uses_dynamic_stack 0
		.amdhsa_enable_private_segment 0
		.amdhsa_system_sgpr_workgroup_id_x 1
		.amdhsa_system_sgpr_workgroup_id_y 0
		.amdhsa_system_sgpr_workgroup_id_z 0
		.amdhsa_system_sgpr_workgroup_info 0
		.amdhsa_system_vgpr_workitem_id 0
		.amdhsa_next_free_vgpr 1
		.amdhsa_next_free_sgpr 1
		.amdhsa_reserve_vcc 0
		.amdhsa_float_round_mode_32 0
		.amdhsa_float_round_mode_16_64 0
		.amdhsa_float_denorm_mode_32 3
		.amdhsa_float_denorm_mode_16_64 3
		.amdhsa_dx10_clamp 1
		.amdhsa_ieee_mode 1
		.amdhsa_fp16_overflow 0
		.amdhsa_workgroup_processor_mode 1
		.amdhsa_memory_ordered 1
		.amdhsa_forward_progress 0
		.amdhsa_shared_vgpr_count 0
		.amdhsa_exception_fp_ieee_invalid_op 0
		.amdhsa_exception_fp_denorm_src 0
		.amdhsa_exception_fp_ieee_div_zero 0
		.amdhsa_exception_fp_ieee_overflow 0
		.amdhsa_exception_fp_ieee_underflow 0
		.amdhsa_exception_fp_ieee_inexact 0
		.amdhsa_exception_int_div_zero 0
	.end_amdhsa_kernel
	.section	.text._ZN9rocsparse29copy_farray_mix_safe_kernel_tIi18rocsparse_bfloat16vE3runILj1024EEEvmPiPKS1_PS1_,"axG",@progbits,_ZN9rocsparse29copy_farray_mix_safe_kernel_tIi18rocsparse_bfloat16vE3runILj1024EEEvmPiPKS1_PS1_,comdat
.Lfunc_end33:
	.size	_ZN9rocsparse29copy_farray_mix_safe_kernel_tIi18rocsparse_bfloat16vE3runILj1024EEEvmPiPKS1_PS1_, .Lfunc_end33-_ZN9rocsparse29copy_farray_mix_safe_kernel_tIi18rocsparse_bfloat16vE3runILj1024EEEvmPiPKS1_PS1_
                                        ; -- End function
	.section	.AMDGPU.csdata,"",@progbits
; Kernel info:
; codeLenInByte = 4
; NumSgprs: 0
; NumVgprs: 0
; ScratchSize: 0
; MemoryBound: 0
; FloatMode: 240
; IeeeMode: 1
; LDSByteSize: 0 bytes/workgroup (compile time only)
; SGPRBlocks: 0
; VGPRBlocks: 0
; NumSGPRsForWavesPerEU: 1
; NumVGPRsForWavesPerEU: 1
; Occupancy: 16
; WaveLimiterHint : 0
; COMPUTE_PGM_RSRC2:SCRATCH_EN: 0
; COMPUTE_PGM_RSRC2:USER_SGPR: 15
; COMPUTE_PGM_RSRC2:TRAP_HANDLER: 0
; COMPUTE_PGM_RSRC2:TGID_X_EN: 1
; COMPUTE_PGM_RSRC2:TGID_Y_EN: 0
; COMPUTE_PGM_RSRC2:TGID_Z_EN: 0
; COMPUTE_PGM_RSRC2:TIDIG_COMP_CNT: 0
	.section	.text._ZN9rocsparse29copy_farray_mix_safe_kernel_tIifvE3runILj1024EEEvmPiPKfPf,"axG",@progbits,_ZN9rocsparse29copy_farray_mix_safe_kernel_tIifvE3runILj1024EEEvmPiPKfPf,comdat
	.protected	_ZN9rocsparse29copy_farray_mix_safe_kernel_tIifvE3runILj1024EEEvmPiPKfPf ; -- Begin function _ZN9rocsparse29copy_farray_mix_safe_kernel_tIifvE3runILj1024EEEvmPiPKfPf
	.globl	_ZN9rocsparse29copy_farray_mix_safe_kernel_tIifvE3runILj1024EEEvmPiPKfPf
	.p2align	8
	.type	_ZN9rocsparse29copy_farray_mix_safe_kernel_tIifvE3runILj1024EEEvmPiPKfPf,@function
_ZN9rocsparse29copy_farray_mix_safe_kernel_tIifvE3runILj1024EEEvmPiPKfPf: ; @_ZN9rocsparse29copy_farray_mix_safe_kernel_tIifvE3runILj1024EEEvmPiPKfPf
; %bb.0:
	s_endpgm
	.section	.rodata,"a",@progbits
	.p2align	6, 0x0
	.amdhsa_kernel _ZN9rocsparse29copy_farray_mix_safe_kernel_tIifvE3runILj1024EEEvmPiPKfPf
		.amdhsa_group_segment_fixed_size 0
		.amdhsa_private_segment_fixed_size 0
		.amdhsa_kernarg_size 32
		.amdhsa_user_sgpr_count 15
		.amdhsa_user_sgpr_dispatch_ptr 0
		.amdhsa_user_sgpr_queue_ptr 0
		.amdhsa_user_sgpr_kernarg_segment_ptr 1
		.amdhsa_user_sgpr_dispatch_id 0
		.amdhsa_user_sgpr_private_segment_size 0
		.amdhsa_wavefront_size32 1
		.amdhsa_uses_dynamic_stack 0
		.amdhsa_enable_private_segment 0
		.amdhsa_system_sgpr_workgroup_id_x 1
		.amdhsa_system_sgpr_workgroup_id_y 0
		.amdhsa_system_sgpr_workgroup_id_z 0
		.amdhsa_system_sgpr_workgroup_info 0
		.amdhsa_system_vgpr_workitem_id 0
		.amdhsa_next_free_vgpr 1
		.amdhsa_next_free_sgpr 1
		.amdhsa_reserve_vcc 0
		.amdhsa_float_round_mode_32 0
		.amdhsa_float_round_mode_16_64 0
		.amdhsa_float_denorm_mode_32 3
		.amdhsa_float_denorm_mode_16_64 3
		.amdhsa_dx10_clamp 1
		.amdhsa_ieee_mode 1
		.amdhsa_fp16_overflow 0
		.amdhsa_workgroup_processor_mode 1
		.amdhsa_memory_ordered 1
		.amdhsa_forward_progress 0
		.amdhsa_shared_vgpr_count 0
		.amdhsa_exception_fp_ieee_invalid_op 0
		.amdhsa_exception_fp_denorm_src 0
		.amdhsa_exception_fp_ieee_div_zero 0
		.amdhsa_exception_fp_ieee_overflow 0
		.amdhsa_exception_fp_ieee_underflow 0
		.amdhsa_exception_fp_ieee_inexact 0
		.amdhsa_exception_int_div_zero 0
	.end_amdhsa_kernel
	.section	.text._ZN9rocsparse29copy_farray_mix_safe_kernel_tIifvE3runILj1024EEEvmPiPKfPf,"axG",@progbits,_ZN9rocsparse29copy_farray_mix_safe_kernel_tIifvE3runILj1024EEEvmPiPKfPf,comdat
.Lfunc_end34:
	.size	_ZN9rocsparse29copy_farray_mix_safe_kernel_tIifvE3runILj1024EEEvmPiPKfPf, .Lfunc_end34-_ZN9rocsparse29copy_farray_mix_safe_kernel_tIifvE3runILj1024EEEvmPiPKfPf
                                        ; -- End function
	.section	.AMDGPU.csdata,"",@progbits
; Kernel info:
; codeLenInByte = 4
; NumSgprs: 0
; NumVgprs: 0
; ScratchSize: 0
; MemoryBound: 0
; FloatMode: 240
; IeeeMode: 1
; LDSByteSize: 0 bytes/workgroup (compile time only)
; SGPRBlocks: 0
; VGPRBlocks: 0
; NumSGPRsForWavesPerEU: 1
; NumVGPRsForWavesPerEU: 1
; Occupancy: 16
; WaveLimiterHint : 0
; COMPUTE_PGM_RSRC2:SCRATCH_EN: 0
; COMPUTE_PGM_RSRC2:USER_SGPR: 15
; COMPUTE_PGM_RSRC2:TRAP_HANDLER: 0
; COMPUTE_PGM_RSRC2:TGID_X_EN: 1
; COMPUTE_PGM_RSRC2:TGID_Y_EN: 0
; COMPUTE_PGM_RSRC2:TGID_Z_EN: 0
; COMPUTE_PGM_RSRC2:TIDIG_COMP_CNT: 0
	.section	.text._ZN9rocsparse29copy_farray_mix_safe_kernel_tIidvE3runILj1024EEEvmPiPKdPd,"axG",@progbits,_ZN9rocsparse29copy_farray_mix_safe_kernel_tIidvE3runILj1024EEEvmPiPKdPd,comdat
	.protected	_ZN9rocsparse29copy_farray_mix_safe_kernel_tIidvE3runILj1024EEEvmPiPKdPd ; -- Begin function _ZN9rocsparse29copy_farray_mix_safe_kernel_tIidvE3runILj1024EEEvmPiPKdPd
	.globl	_ZN9rocsparse29copy_farray_mix_safe_kernel_tIidvE3runILj1024EEEvmPiPKdPd
	.p2align	8
	.type	_ZN9rocsparse29copy_farray_mix_safe_kernel_tIidvE3runILj1024EEEvmPiPKdPd,@function
_ZN9rocsparse29copy_farray_mix_safe_kernel_tIidvE3runILj1024EEEvmPiPKdPd: ; @_ZN9rocsparse29copy_farray_mix_safe_kernel_tIidvE3runILj1024EEEvmPiPKdPd
; %bb.0:
	s_endpgm
	.section	.rodata,"a",@progbits
	.p2align	6, 0x0
	.amdhsa_kernel _ZN9rocsparse29copy_farray_mix_safe_kernel_tIidvE3runILj1024EEEvmPiPKdPd
		.amdhsa_group_segment_fixed_size 0
		.amdhsa_private_segment_fixed_size 0
		.amdhsa_kernarg_size 32
		.amdhsa_user_sgpr_count 15
		.amdhsa_user_sgpr_dispatch_ptr 0
		.amdhsa_user_sgpr_queue_ptr 0
		.amdhsa_user_sgpr_kernarg_segment_ptr 1
		.amdhsa_user_sgpr_dispatch_id 0
		.amdhsa_user_sgpr_private_segment_size 0
		.amdhsa_wavefront_size32 1
		.amdhsa_uses_dynamic_stack 0
		.amdhsa_enable_private_segment 0
		.amdhsa_system_sgpr_workgroup_id_x 1
		.amdhsa_system_sgpr_workgroup_id_y 0
		.amdhsa_system_sgpr_workgroup_id_z 0
		.amdhsa_system_sgpr_workgroup_info 0
		.amdhsa_system_vgpr_workitem_id 0
		.amdhsa_next_free_vgpr 1
		.amdhsa_next_free_sgpr 1
		.amdhsa_reserve_vcc 0
		.amdhsa_float_round_mode_32 0
		.amdhsa_float_round_mode_16_64 0
		.amdhsa_float_denorm_mode_32 3
		.amdhsa_float_denorm_mode_16_64 3
		.amdhsa_dx10_clamp 1
		.amdhsa_ieee_mode 1
		.amdhsa_fp16_overflow 0
		.amdhsa_workgroup_processor_mode 1
		.amdhsa_memory_ordered 1
		.amdhsa_forward_progress 0
		.amdhsa_shared_vgpr_count 0
		.amdhsa_exception_fp_ieee_invalid_op 0
		.amdhsa_exception_fp_denorm_src 0
		.amdhsa_exception_fp_ieee_div_zero 0
		.amdhsa_exception_fp_ieee_overflow 0
		.amdhsa_exception_fp_ieee_underflow 0
		.amdhsa_exception_fp_ieee_inexact 0
		.amdhsa_exception_int_div_zero 0
	.end_amdhsa_kernel
	.section	.text._ZN9rocsparse29copy_farray_mix_safe_kernel_tIidvE3runILj1024EEEvmPiPKdPd,"axG",@progbits,_ZN9rocsparse29copy_farray_mix_safe_kernel_tIidvE3runILj1024EEEvmPiPKdPd,comdat
.Lfunc_end35:
	.size	_ZN9rocsparse29copy_farray_mix_safe_kernel_tIidvE3runILj1024EEEvmPiPKdPd, .Lfunc_end35-_ZN9rocsparse29copy_farray_mix_safe_kernel_tIidvE3runILj1024EEEvmPiPKdPd
                                        ; -- End function
	.section	.AMDGPU.csdata,"",@progbits
; Kernel info:
; codeLenInByte = 4
; NumSgprs: 0
; NumVgprs: 0
; ScratchSize: 0
; MemoryBound: 0
; FloatMode: 240
; IeeeMode: 1
; LDSByteSize: 0 bytes/workgroup (compile time only)
; SGPRBlocks: 0
; VGPRBlocks: 0
; NumSGPRsForWavesPerEU: 1
; NumVGPRsForWavesPerEU: 1
; Occupancy: 16
; WaveLimiterHint : 0
; COMPUTE_PGM_RSRC2:SCRATCH_EN: 0
; COMPUTE_PGM_RSRC2:USER_SGPR: 15
; COMPUTE_PGM_RSRC2:TRAP_HANDLER: 0
; COMPUTE_PGM_RSRC2:TGID_X_EN: 1
; COMPUTE_PGM_RSRC2:TGID_Y_EN: 0
; COMPUTE_PGM_RSRC2:TGID_Z_EN: 0
; COMPUTE_PGM_RSRC2:TIDIG_COMP_CNT: 0
	.section	.text._ZN9rocsparse29copy_farray_mix_safe_kernel_tIi21rocsparse_complex_numIfEvE3runILj1024EEEvmPiPKS2_Pf,"axG",@progbits,_ZN9rocsparse29copy_farray_mix_safe_kernel_tIi21rocsparse_complex_numIfEvE3runILj1024EEEvmPiPKS2_Pf,comdat
	.protected	_ZN9rocsparse29copy_farray_mix_safe_kernel_tIi21rocsparse_complex_numIfEvE3runILj1024EEEvmPiPKS2_Pf ; -- Begin function _ZN9rocsparse29copy_farray_mix_safe_kernel_tIi21rocsparse_complex_numIfEvE3runILj1024EEEvmPiPKS2_Pf
	.globl	_ZN9rocsparse29copy_farray_mix_safe_kernel_tIi21rocsparse_complex_numIfEvE3runILj1024EEEvmPiPKS2_Pf
	.p2align	8
	.type	_ZN9rocsparse29copy_farray_mix_safe_kernel_tIi21rocsparse_complex_numIfEvE3runILj1024EEEvmPiPKS2_Pf,@function
_ZN9rocsparse29copy_farray_mix_safe_kernel_tIi21rocsparse_complex_numIfEvE3runILj1024EEEvmPiPKS2_Pf: ; @_ZN9rocsparse29copy_farray_mix_safe_kernel_tIi21rocsparse_complex_numIfEvE3runILj1024EEEvmPiPKS2_Pf
; %bb.0:
	s_endpgm
	.section	.rodata,"a",@progbits
	.p2align	6, 0x0
	.amdhsa_kernel _ZN9rocsparse29copy_farray_mix_safe_kernel_tIi21rocsparse_complex_numIfEvE3runILj1024EEEvmPiPKS2_Pf
		.amdhsa_group_segment_fixed_size 0
		.amdhsa_private_segment_fixed_size 0
		.amdhsa_kernarg_size 32
		.amdhsa_user_sgpr_count 15
		.amdhsa_user_sgpr_dispatch_ptr 0
		.amdhsa_user_sgpr_queue_ptr 0
		.amdhsa_user_sgpr_kernarg_segment_ptr 1
		.amdhsa_user_sgpr_dispatch_id 0
		.amdhsa_user_sgpr_private_segment_size 0
		.amdhsa_wavefront_size32 1
		.amdhsa_uses_dynamic_stack 0
		.amdhsa_enable_private_segment 0
		.amdhsa_system_sgpr_workgroup_id_x 1
		.amdhsa_system_sgpr_workgroup_id_y 0
		.amdhsa_system_sgpr_workgroup_id_z 0
		.amdhsa_system_sgpr_workgroup_info 0
		.amdhsa_system_vgpr_workitem_id 0
		.amdhsa_next_free_vgpr 1
		.amdhsa_next_free_sgpr 1
		.amdhsa_reserve_vcc 0
		.amdhsa_float_round_mode_32 0
		.amdhsa_float_round_mode_16_64 0
		.amdhsa_float_denorm_mode_32 3
		.amdhsa_float_denorm_mode_16_64 3
		.amdhsa_dx10_clamp 1
		.amdhsa_ieee_mode 1
		.amdhsa_fp16_overflow 0
		.amdhsa_workgroup_processor_mode 1
		.amdhsa_memory_ordered 1
		.amdhsa_forward_progress 0
		.amdhsa_shared_vgpr_count 0
		.amdhsa_exception_fp_ieee_invalid_op 0
		.amdhsa_exception_fp_denorm_src 0
		.amdhsa_exception_fp_ieee_div_zero 0
		.amdhsa_exception_fp_ieee_overflow 0
		.amdhsa_exception_fp_ieee_underflow 0
		.amdhsa_exception_fp_ieee_inexact 0
		.amdhsa_exception_int_div_zero 0
	.end_amdhsa_kernel
	.section	.text._ZN9rocsparse29copy_farray_mix_safe_kernel_tIi21rocsparse_complex_numIfEvE3runILj1024EEEvmPiPKS2_Pf,"axG",@progbits,_ZN9rocsparse29copy_farray_mix_safe_kernel_tIi21rocsparse_complex_numIfEvE3runILj1024EEEvmPiPKS2_Pf,comdat
.Lfunc_end36:
	.size	_ZN9rocsparse29copy_farray_mix_safe_kernel_tIi21rocsparse_complex_numIfEvE3runILj1024EEEvmPiPKS2_Pf, .Lfunc_end36-_ZN9rocsparse29copy_farray_mix_safe_kernel_tIi21rocsparse_complex_numIfEvE3runILj1024EEEvmPiPKS2_Pf
                                        ; -- End function
	.section	.AMDGPU.csdata,"",@progbits
; Kernel info:
; codeLenInByte = 4
; NumSgprs: 0
; NumVgprs: 0
; ScratchSize: 0
; MemoryBound: 0
; FloatMode: 240
; IeeeMode: 1
; LDSByteSize: 0 bytes/workgroup (compile time only)
; SGPRBlocks: 0
; VGPRBlocks: 0
; NumSGPRsForWavesPerEU: 1
; NumVGPRsForWavesPerEU: 1
; Occupancy: 16
; WaveLimiterHint : 0
; COMPUTE_PGM_RSRC2:SCRATCH_EN: 0
; COMPUTE_PGM_RSRC2:USER_SGPR: 15
; COMPUTE_PGM_RSRC2:TRAP_HANDLER: 0
; COMPUTE_PGM_RSRC2:TGID_X_EN: 1
; COMPUTE_PGM_RSRC2:TGID_Y_EN: 0
; COMPUTE_PGM_RSRC2:TGID_Z_EN: 0
; COMPUTE_PGM_RSRC2:TIDIG_COMP_CNT: 0
	.section	.text._ZN9rocsparse29copy_farray_mix_safe_kernel_tIi21rocsparse_complex_numIdEvE3runILj1024EEEvmPiPKS2_Pd,"axG",@progbits,_ZN9rocsparse29copy_farray_mix_safe_kernel_tIi21rocsparse_complex_numIdEvE3runILj1024EEEvmPiPKS2_Pd,comdat
	.protected	_ZN9rocsparse29copy_farray_mix_safe_kernel_tIi21rocsparse_complex_numIdEvE3runILj1024EEEvmPiPKS2_Pd ; -- Begin function _ZN9rocsparse29copy_farray_mix_safe_kernel_tIi21rocsparse_complex_numIdEvE3runILj1024EEEvmPiPKS2_Pd
	.globl	_ZN9rocsparse29copy_farray_mix_safe_kernel_tIi21rocsparse_complex_numIdEvE3runILj1024EEEvmPiPKS2_Pd
	.p2align	8
	.type	_ZN9rocsparse29copy_farray_mix_safe_kernel_tIi21rocsparse_complex_numIdEvE3runILj1024EEEvmPiPKS2_Pd,@function
_ZN9rocsparse29copy_farray_mix_safe_kernel_tIi21rocsparse_complex_numIdEvE3runILj1024EEEvmPiPKS2_Pd: ; @_ZN9rocsparse29copy_farray_mix_safe_kernel_tIi21rocsparse_complex_numIdEvE3runILj1024EEEvmPiPKS2_Pd
; %bb.0:
	s_endpgm
	.section	.rodata,"a",@progbits
	.p2align	6, 0x0
	.amdhsa_kernel _ZN9rocsparse29copy_farray_mix_safe_kernel_tIi21rocsparse_complex_numIdEvE3runILj1024EEEvmPiPKS2_Pd
		.amdhsa_group_segment_fixed_size 0
		.amdhsa_private_segment_fixed_size 0
		.amdhsa_kernarg_size 32
		.amdhsa_user_sgpr_count 15
		.amdhsa_user_sgpr_dispatch_ptr 0
		.amdhsa_user_sgpr_queue_ptr 0
		.amdhsa_user_sgpr_kernarg_segment_ptr 1
		.amdhsa_user_sgpr_dispatch_id 0
		.amdhsa_user_sgpr_private_segment_size 0
		.amdhsa_wavefront_size32 1
		.amdhsa_uses_dynamic_stack 0
		.amdhsa_enable_private_segment 0
		.amdhsa_system_sgpr_workgroup_id_x 1
		.amdhsa_system_sgpr_workgroup_id_y 0
		.amdhsa_system_sgpr_workgroup_id_z 0
		.amdhsa_system_sgpr_workgroup_info 0
		.amdhsa_system_vgpr_workitem_id 0
		.amdhsa_next_free_vgpr 1
		.amdhsa_next_free_sgpr 1
		.amdhsa_reserve_vcc 0
		.amdhsa_float_round_mode_32 0
		.amdhsa_float_round_mode_16_64 0
		.amdhsa_float_denorm_mode_32 3
		.amdhsa_float_denorm_mode_16_64 3
		.amdhsa_dx10_clamp 1
		.amdhsa_ieee_mode 1
		.amdhsa_fp16_overflow 0
		.amdhsa_workgroup_processor_mode 1
		.amdhsa_memory_ordered 1
		.amdhsa_forward_progress 0
		.amdhsa_shared_vgpr_count 0
		.amdhsa_exception_fp_ieee_invalid_op 0
		.amdhsa_exception_fp_denorm_src 0
		.amdhsa_exception_fp_ieee_div_zero 0
		.amdhsa_exception_fp_ieee_overflow 0
		.amdhsa_exception_fp_ieee_underflow 0
		.amdhsa_exception_fp_ieee_inexact 0
		.amdhsa_exception_int_div_zero 0
	.end_amdhsa_kernel
	.section	.text._ZN9rocsparse29copy_farray_mix_safe_kernel_tIi21rocsparse_complex_numIdEvE3runILj1024EEEvmPiPKS2_Pd,"axG",@progbits,_ZN9rocsparse29copy_farray_mix_safe_kernel_tIi21rocsparse_complex_numIdEvE3runILj1024EEEvmPiPKS2_Pd,comdat
.Lfunc_end37:
	.size	_ZN9rocsparse29copy_farray_mix_safe_kernel_tIi21rocsparse_complex_numIdEvE3runILj1024EEEvmPiPKS2_Pd, .Lfunc_end37-_ZN9rocsparse29copy_farray_mix_safe_kernel_tIi21rocsparse_complex_numIdEvE3runILj1024EEEvmPiPKS2_Pd
                                        ; -- End function
	.section	.AMDGPU.csdata,"",@progbits
; Kernel info:
; codeLenInByte = 4
; NumSgprs: 0
; NumVgprs: 0
; ScratchSize: 0
; MemoryBound: 0
; FloatMode: 240
; IeeeMode: 1
; LDSByteSize: 0 bytes/workgroup (compile time only)
; SGPRBlocks: 0
; VGPRBlocks: 0
; NumSGPRsForWavesPerEU: 1
; NumVGPRsForWavesPerEU: 1
; Occupancy: 16
; WaveLimiterHint : 0
; COMPUTE_PGM_RSRC2:SCRATCH_EN: 0
; COMPUTE_PGM_RSRC2:USER_SGPR: 15
; COMPUTE_PGM_RSRC2:TRAP_HANDLER: 0
; COMPUTE_PGM_RSRC2:TGID_X_EN: 1
; COMPUTE_PGM_RSRC2:TGID_Y_EN: 0
; COMPUTE_PGM_RSRC2:TGID_Z_EN: 0
; COMPUTE_PGM_RSRC2:TIDIG_COMP_CNT: 0
	.section	.text._ZN9rocsparse29copy_farray_mix_safe_kernel_tIjavE3runILj1024EEEvmPjPKaPa,"axG",@progbits,_ZN9rocsparse29copy_farray_mix_safe_kernel_tIjavE3runILj1024EEEvmPjPKaPa,comdat
	.protected	_ZN9rocsparse29copy_farray_mix_safe_kernel_tIjavE3runILj1024EEEvmPjPKaPa ; -- Begin function _ZN9rocsparse29copy_farray_mix_safe_kernel_tIjavE3runILj1024EEEvmPjPKaPa
	.globl	_ZN9rocsparse29copy_farray_mix_safe_kernel_tIjavE3runILj1024EEEvmPjPKaPa
	.p2align	8
	.type	_ZN9rocsparse29copy_farray_mix_safe_kernel_tIjavE3runILj1024EEEvmPjPKaPa,@function
_ZN9rocsparse29copy_farray_mix_safe_kernel_tIjavE3runILj1024EEEvmPjPKaPa: ; @_ZN9rocsparse29copy_farray_mix_safe_kernel_tIjavE3runILj1024EEEvmPjPKaPa
; %bb.0:
	s_endpgm
	.section	.rodata,"a",@progbits
	.p2align	6, 0x0
	.amdhsa_kernel _ZN9rocsparse29copy_farray_mix_safe_kernel_tIjavE3runILj1024EEEvmPjPKaPa
		.amdhsa_group_segment_fixed_size 0
		.amdhsa_private_segment_fixed_size 0
		.amdhsa_kernarg_size 32
		.amdhsa_user_sgpr_count 15
		.amdhsa_user_sgpr_dispatch_ptr 0
		.amdhsa_user_sgpr_queue_ptr 0
		.amdhsa_user_sgpr_kernarg_segment_ptr 1
		.amdhsa_user_sgpr_dispatch_id 0
		.amdhsa_user_sgpr_private_segment_size 0
		.amdhsa_wavefront_size32 1
		.amdhsa_uses_dynamic_stack 0
		.amdhsa_enable_private_segment 0
		.amdhsa_system_sgpr_workgroup_id_x 1
		.amdhsa_system_sgpr_workgroup_id_y 0
		.amdhsa_system_sgpr_workgroup_id_z 0
		.amdhsa_system_sgpr_workgroup_info 0
		.amdhsa_system_vgpr_workitem_id 0
		.amdhsa_next_free_vgpr 1
		.amdhsa_next_free_sgpr 1
		.amdhsa_reserve_vcc 0
		.amdhsa_float_round_mode_32 0
		.amdhsa_float_round_mode_16_64 0
		.amdhsa_float_denorm_mode_32 3
		.amdhsa_float_denorm_mode_16_64 3
		.amdhsa_dx10_clamp 1
		.amdhsa_ieee_mode 1
		.amdhsa_fp16_overflow 0
		.amdhsa_workgroup_processor_mode 1
		.amdhsa_memory_ordered 1
		.amdhsa_forward_progress 0
		.amdhsa_shared_vgpr_count 0
		.amdhsa_exception_fp_ieee_invalid_op 0
		.amdhsa_exception_fp_denorm_src 0
		.amdhsa_exception_fp_ieee_div_zero 0
		.amdhsa_exception_fp_ieee_overflow 0
		.amdhsa_exception_fp_ieee_underflow 0
		.amdhsa_exception_fp_ieee_inexact 0
		.amdhsa_exception_int_div_zero 0
	.end_amdhsa_kernel
	.section	.text._ZN9rocsparse29copy_farray_mix_safe_kernel_tIjavE3runILj1024EEEvmPjPKaPa,"axG",@progbits,_ZN9rocsparse29copy_farray_mix_safe_kernel_tIjavE3runILj1024EEEvmPjPKaPa,comdat
.Lfunc_end38:
	.size	_ZN9rocsparse29copy_farray_mix_safe_kernel_tIjavE3runILj1024EEEvmPjPKaPa, .Lfunc_end38-_ZN9rocsparse29copy_farray_mix_safe_kernel_tIjavE3runILj1024EEEvmPjPKaPa
                                        ; -- End function
	.section	.AMDGPU.csdata,"",@progbits
; Kernel info:
; codeLenInByte = 4
; NumSgprs: 0
; NumVgprs: 0
; ScratchSize: 0
; MemoryBound: 0
; FloatMode: 240
; IeeeMode: 1
; LDSByteSize: 0 bytes/workgroup (compile time only)
; SGPRBlocks: 0
; VGPRBlocks: 0
; NumSGPRsForWavesPerEU: 1
; NumVGPRsForWavesPerEU: 1
; Occupancy: 16
; WaveLimiterHint : 0
; COMPUTE_PGM_RSRC2:SCRATCH_EN: 0
; COMPUTE_PGM_RSRC2:USER_SGPR: 15
; COMPUTE_PGM_RSRC2:TRAP_HANDLER: 0
; COMPUTE_PGM_RSRC2:TGID_X_EN: 1
; COMPUTE_PGM_RSRC2:TGID_Y_EN: 0
; COMPUTE_PGM_RSRC2:TGID_Z_EN: 0
; COMPUTE_PGM_RSRC2:TIDIG_COMP_CNT: 0
	.section	.text._ZN9rocsparse29copy_farray_mix_safe_kernel_tIjhvE3runILj1024EEEvmPjPKhPh,"axG",@progbits,_ZN9rocsparse29copy_farray_mix_safe_kernel_tIjhvE3runILj1024EEEvmPjPKhPh,comdat
	.protected	_ZN9rocsparse29copy_farray_mix_safe_kernel_tIjhvE3runILj1024EEEvmPjPKhPh ; -- Begin function _ZN9rocsparse29copy_farray_mix_safe_kernel_tIjhvE3runILj1024EEEvmPjPKhPh
	.globl	_ZN9rocsparse29copy_farray_mix_safe_kernel_tIjhvE3runILj1024EEEvmPjPKhPh
	.p2align	8
	.type	_ZN9rocsparse29copy_farray_mix_safe_kernel_tIjhvE3runILj1024EEEvmPjPKhPh,@function
_ZN9rocsparse29copy_farray_mix_safe_kernel_tIjhvE3runILj1024EEEvmPjPKhPh: ; @_ZN9rocsparse29copy_farray_mix_safe_kernel_tIjhvE3runILj1024EEEvmPjPKhPh
; %bb.0:
	s_endpgm
	.section	.rodata,"a",@progbits
	.p2align	6, 0x0
	.amdhsa_kernel _ZN9rocsparse29copy_farray_mix_safe_kernel_tIjhvE3runILj1024EEEvmPjPKhPh
		.amdhsa_group_segment_fixed_size 0
		.amdhsa_private_segment_fixed_size 0
		.amdhsa_kernarg_size 32
		.amdhsa_user_sgpr_count 15
		.amdhsa_user_sgpr_dispatch_ptr 0
		.amdhsa_user_sgpr_queue_ptr 0
		.amdhsa_user_sgpr_kernarg_segment_ptr 1
		.amdhsa_user_sgpr_dispatch_id 0
		.amdhsa_user_sgpr_private_segment_size 0
		.amdhsa_wavefront_size32 1
		.amdhsa_uses_dynamic_stack 0
		.amdhsa_enable_private_segment 0
		.amdhsa_system_sgpr_workgroup_id_x 1
		.amdhsa_system_sgpr_workgroup_id_y 0
		.amdhsa_system_sgpr_workgroup_id_z 0
		.amdhsa_system_sgpr_workgroup_info 0
		.amdhsa_system_vgpr_workitem_id 0
		.amdhsa_next_free_vgpr 1
		.amdhsa_next_free_sgpr 1
		.amdhsa_reserve_vcc 0
		.amdhsa_float_round_mode_32 0
		.amdhsa_float_round_mode_16_64 0
		.amdhsa_float_denorm_mode_32 3
		.amdhsa_float_denorm_mode_16_64 3
		.amdhsa_dx10_clamp 1
		.amdhsa_ieee_mode 1
		.amdhsa_fp16_overflow 0
		.amdhsa_workgroup_processor_mode 1
		.amdhsa_memory_ordered 1
		.amdhsa_forward_progress 0
		.amdhsa_shared_vgpr_count 0
		.amdhsa_exception_fp_ieee_invalid_op 0
		.amdhsa_exception_fp_denorm_src 0
		.amdhsa_exception_fp_ieee_div_zero 0
		.amdhsa_exception_fp_ieee_overflow 0
		.amdhsa_exception_fp_ieee_underflow 0
		.amdhsa_exception_fp_ieee_inexact 0
		.amdhsa_exception_int_div_zero 0
	.end_amdhsa_kernel
	.section	.text._ZN9rocsparse29copy_farray_mix_safe_kernel_tIjhvE3runILj1024EEEvmPjPKhPh,"axG",@progbits,_ZN9rocsparse29copy_farray_mix_safe_kernel_tIjhvE3runILj1024EEEvmPjPKhPh,comdat
.Lfunc_end39:
	.size	_ZN9rocsparse29copy_farray_mix_safe_kernel_tIjhvE3runILj1024EEEvmPjPKhPh, .Lfunc_end39-_ZN9rocsparse29copy_farray_mix_safe_kernel_tIjhvE3runILj1024EEEvmPjPKhPh
                                        ; -- End function
	.section	.AMDGPU.csdata,"",@progbits
; Kernel info:
; codeLenInByte = 4
; NumSgprs: 0
; NumVgprs: 0
; ScratchSize: 0
; MemoryBound: 0
; FloatMode: 240
; IeeeMode: 1
; LDSByteSize: 0 bytes/workgroup (compile time only)
; SGPRBlocks: 0
; VGPRBlocks: 0
; NumSGPRsForWavesPerEU: 1
; NumVGPRsForWavesPerEU: 1
; Occupancy: 16
; WaveLimiterHint : 0
; COMPUTE_PGM_RSRC2:SCRATCH_EN: 0
; COMPUTE_PGM_RSRC2:USER_SGPR: 15
; COMPUTE_PGM_RSRC2:TRAP_HANDLER: 0
; COMPUTE_PGM_RSRC2:TGID_X_EN: 1
; COMPUTE_PGM_RSRC2:TGID_Y_EN: 0
; COMPUTE_PGM_RSRC2:TGID_Z_EN: 0
; COMPUTE_PGM_RSRC2:TIDIG_COMP_CNT: 0
	.section	.text._ZN9rocsparse29copy_farray_mix_safe_kernel_tIjivE3runILj1024EEEvmPjPKiPi,"axG",@progbits,_ZN9rocsparse29copy_farray_mix_safe_kernel_tIjivE3runILj1024EEEvmPjPKiPi,comdat
	.protected	_ZN9rocsparse29copy_farray_mix_safe_kernel_tIjivE3runILj1024EEEvmPjPKiPi ; -- Begin function _ZN9rocsparse29copy_farray_mix_safe_kernel_tIjivE3runILj1024EEEvmPjPKiPi
	.globl	_ZN9rocsparse29copy_farray_mix_safe_kernel_tIjivE3runILj1024EEEvmPjPKiPi
	.p2align	8
	.type	_ZN9rocsparse29copy_farray_mix_safe_kernel_tIjivE3runILj1024EEEvmPjPKiPi,@function
_ZN9rocsparse29copy_farray_mix_safe_kernel_tIjivE3runILj1024EEEvmPjPKiPi: ; @_ZN9rocsparse29copy_farray_mix_safe_kernel_tIjivE3runILj1024EEEvmPjPKiPi
; %bb.0:
	s_endpgm
	.section	.rodata,"a",@progbits
	.p2align	6, 0x0
	.amdhsa_kernel _ZN9rocsparse29copy_farray_mix_safe_kernel_tIjivE3runILj1024EEEvmPjPKiPi
		.amdhsa_group_segment_fixed_size 0
		.amdhsa_private_segment_fixed_size 0
		.amdhsa_kernarg_size 32
		.amdhsa_user_sgpr_count 15
		.amdhsa_user_sgpr_dispatch_ptr 0
		.amdhsa_user_sgpr_queue_ptr 0
		.amdhsa_user_sgpr_kernarg_segment_ptr 1
		.amdhsa_user_sgpr_dispatch_id 0
		.amdhsa_user_sgpr_private_segment_size 0
		.amdhsa_wavefront_size32 1
		.amdhsa_uses_dynamic_stack 0
		.amdhsa_enable_private_segment 0
		.amdhsa_system_sgpr_workgroup_id_x 1
		.amdhsa_system_sgpr_workgroup_id_y 0
		.amdhsa_system_sgpr_workgroup_id_z 0
		.amdhsa_system_sgpr_workgroup_info 0
		.amdhsa_system_vgpr_workitem_id 0
		.amdhsa_next_free_vgpr 1
		.amdhsa_next_free_sgpr 1
		.amdhsa_reserve_vcc 0
		.amdhsa_float_round_mode_32 0
		.amdhsa_float_round_mode_16_64 0
		.amdhsa_float_denorm_mode_32 3
		.amdhsa_float_denorm_mode_16_64 3
		.amdhsa_dx10_clamp 1
		.amdhsa_ieee_mode 1
		.amdhsa_fp16_overflow 0
		.amdhsa_workgroup_processor_mode 1
		.amdhsa_memory_ordered 1
		.amdhsa_forward_progress 0
		.amdhsa_shared_vgpr_count 0
		.amdhsa_exception_fp_ieee_invalid_op 0
		.amdhsa_exception_fp_denorm_src 0
		.amdhsa_exception_fp_ieee_div_zero 0
		.amdhsa_exception_fp_ieee_overflow 0
		.amdhsa_exception_fp_ieee_underflow 0
		.amdhsa_exception_fp_ieee_inexact 0
		.amdhsa_exception_int_div_zero 0
	.end_amdhsa_kernel
	.section	.text._ZN9rocsparse29copy_farray_mix_safe_kernel_tIjivE3runILj1024EEEvmPjPKiPi,"axG",@progbits,_ZN9rocsparse29copy_farray_mix_safe_kernel_tIjivE3runILj1024EEEvmPjPKiPi,comdat
.Lfunc_end40:
	.size	_ZN9rocsparse29copy_farray_mix_safe_kernel_tIjivE3runILj1024EEEvmPjPKiPi, .Lfunc_end40-_ZN9rocsparse29copy_farray_mix_safe_kernel_tIjivE3runILj1024EEEvmPjPKiPi
                                        ; -- End function
	.section	.AMDGPU.csdata,"",@progbits
; Kernel info:
; codeLenInByte = 4
; NumSgprs: 0
; NumVgprs: 0
; ScratchSize: 0
; MemoryBound: 0
; FloatMode: 240
; IeeeMode: 1
; LDSByteSize: 0 bytes/workgroup (compile time only)
; SGPRBlocks: 0
; VGPRBlocks: 0
; NumSGPRsForWavesPerEU: 1
; NumVGPRsForWavesPerEU: 1
; Occupancy: 16
; WaveLimiterHint : 0
; COMPUTE_PGM_RSRC2:SCRATCH_EN: 0
; COMPUTE_PGM_RSRC2:USER_SGPR: 15
; COMPUTE_PGM_RSRC2:TRAP_HANDLER: 0
; COMPUTE_PGM_RSRC2:TGID_X_EN: 1
; COMPUTE_PGM_RSRC2:TGID_Y_EN: 0
; COMPUTE_PGM_RSRC2:TGID_Z_EN: 0
; COMPUTE_PGM_RSRC2:TIDIG_COMP_CNT: 0
	.section	.text._ZN9rocsparse29copy_farray_mix_safe_kernel_tIjjvE3runILj1024EEEvmPjPKjS3_,"axG",@progbits,_ZN9rocsparse29copy_farray_mix_safe_kernel_tIjjvE3runILj1024EEEvmPjPKjS3_,comdat
	.protected	_ZN9rocsparse29copy_farray_mix_safe_kernel_tIjjvE3runILj1024EEEvmPjPKjS3_ ; -- Begin function _ZN9rocsparse29copy_farray_mix_safe_kernel_tIjjvE3runILj1024EEEvmPjPKjS3_
	.globl	_ZN9rocsparse29copy_farray_mix_safe_kernel_tIjjvE3runILj1024EEEvmPjPKjS3_
	.p2align	8
	.type	_ZN9rocsparse29copy_farray_mix_safe_kernel_tIjjvE3runILj1024EEEvmPjPKjS3_,@function
_ZN9rocsparse29copy_farray_mix_safe_kernel_tIjjvE3runILj1024EEEvmPjPKjS3_: ; @_ZN9rocsparse29copy_farray_mix_safe_kernel_tIjjvE3runILj1024EEEvmPjPKjS3_
; %bb.0:
	s_load_b128 s[4:7], s[0:1], 0x0
	v_lshl_or_b32 v0, s15, 10, v0
	v_mov_b32_e32 v1, 0
	s_mov_b32 s2, exec_lo
	s_waitcnt lgkmcnt(0)
	s_delay_alu instid0(VALU_DEP_1)
	v_cmpx_gt_u64_e64 s[4:5], v[0:1]
	s_cbranch_execz .LBB41_2
; %bb.1:
	s_load_b64 s[0:1], s[0:1], 0x10
	v_lshlrev_b64 v[0:1], 2, v[0:1]
	s_waitcnt lgkmcnt(0)
	s_delay_alu instid0(VALU_DEP_1) | instskip(NEXT) | instid1(VALU_DEP_2)
	v_add_co_u32 v2, vcc_lo, s0, v0
	v_add_co_ci_u32_e32 v3, vcc_lo, s1, v1, vcc_lo
	v_add_co_u32 v0, vcc_lo, s6, v0
	v_add_co_ci_u32_e32 v1, vcc_lo, s7, v1, vcc_lo
	global_load_b32 v2, v[2:3], off
	s_waitcnt vmcnt(0)
	global_store_b32 v[0:1], v2, off
.LBB41_2:
	s_nop 0
	s_sendmsg sendmsg(MSG_DEALLOC_VGPRS)
	s_endpgm
	.section	.rodata,"a",@progbits
	.p2align	6, 0x0
	.amdhsa_kernel _ZN9rocsparse29copy_farray_mix_safe_kernel_tIjjvE3runILj1024EEEvmPjPKjS3_
		.amdhsa_group_segment_fixed_size 0
		.amdhsa_private_segment_fixed_size 0
		.amdhsa_kernarg_size 32
		.amdhsa_user_sgpr_count 15
		.amdhsa_user_sgpr_dispatch_ptr 0
		.amdhsa_user_sgpr_queue_ptr 0
		.amdhsa_user_sgpr_kernarg_segment_ptr 1
		.amdhsa_user_sgpr_dispatch_id 0
		.amdhsa_user_sgpr_private_segment_size 0
		.amdhsa_wavefront_size32 1
		.amdhsa_uses_dynamic_stack 0
		.amdhsa_enable_private_segment 0
		.amdhsa_system_sgpr_workgroup_id_x 1
		.amdhsa_system_sgpr_workgroup_id_y 0
		.amdhsa_system_sgpr_workgroup_id_z 0
		.amdhsa_system_sgpr_workgroup_info 0
		.amdhsa_system_vgpr_workitem_id 0
		.amdhsa_next_free_vgpr 4
		.amdhsa_next_free_sgpr 16
		.amdhsa_reserve_vcc 1
		.amdhsa_float_round_mode_32 0
		.amdhsa_float_round_mode_16_64 0
		.amdhsa_float_denorm_mode_32 3
		.amdhsa_float_denorm_mode_16_64 3
		.amdhsa_dx10_clamp 1
		.amdhsa_ieee_mode 1
		.amdhsa_fp16_overflow 0
		.amdhsa_workgroup_processor_mode 1
		.amdhsa_memory_ordered 1
		.amdhsa_forward_progress 0
		.amdhsa_shared_vgpr_count 0
		.amdhsa_exception_fp_ieee_invalid_op 0
		.amdhsa_exception_fp_denorm_src 0
		.amdhsa_exception_fp_ieee_div_zero 0
		.amdhsa_exception_fp_ieee_overflow 0
		.amdhsa_exception_fp_ieee_underflow 0
		.amdhsa_exception_fp_ieee_inexact 0
		.amdhsa_exception_int_div_zero 0
	.end_amdhsa_kernel
	.section	.text._ZN9rocsparse29copy_farray_mix_safe_kernel_tIjjvE3runILj1024EEEvmPjPKjS3_,"axG",@progbits,_ZN9rocsparse29copy_farray_mix_safe_kernel_tIjjvE3runILj1024EEEvmPjPKjS3_,comdat
.Lfunc_end41:
	.size	_ZN9rocsparse29copy_farray_mix_safe_kernel_tIjjvE3runILj1024EEEvmPjPKjS3_, .Lfunc_end41-_ZN9rocsparse29copy_farray_mix_safe_kernel_tIjjvE3runILj1024EEEvmPjPKjS3_
                                        ; -- End function
	.section	.AMDGPU.csdata,"",@progbits
; Kernel info:
; codeLenInByte = 124
; NumSgprs: 18
; NumVgprs: 4
; ScratchSize: 0
; MemoryBound: 0
; FloatMode: 240
; IeeeMode: 1
; LDSByteSize: 0 bytes/workgroup (compile time only)
; SGPRBlocks: 2
; VGPRBlocks: 0
; NumSGPRsForWavesPerEU: 18
; NumVGPRsForWavesPerEU: 4
; Occupancy: 16
; WaveLimiterHint : 0
; COMPUTE_PGM_RSRC2:SCRATCH_EN: 0
; COMPUTE_PGM_RSRC2:USER_SGPR: 15
; COMPUTE_PGM_RSRC2:TRAP_HANDLER: 0
; COMPUTE_PGM_RSRC2:TGID_X_EN: 1
; COMPUTE_PGM_RSRC2:TGID_Y_EN: 0
; COMPUTE_PGM_RSRC2:TGID_Z_EN: 0
; COMPUTE_PGM_RSRC2:TIDIG_COMP_CNT: 0
	.section	.text._ZN9rocsparse29copy_farray_mix_safe_kernel_tIjDF16_vE3runILj1024EEEvmPjPKDF16_PDF16_,"axG",@progbits,_ZN9rocsparse29copy_farray_mix_safe_kernel_tIjDF16_vE3runILj1024EEEvmPjPKDF16_PDF16_,comdat
	.protected	_ZN9rocsparse29copy_farray_mix_safe_kernel_tIjDF16_vE3runILj1024EEEvmPjPKDF16_PDF16_ ; -- Begin function _ZN9rocsparse29copy_farray_mix_safe_kernel_tIjDF16_vE3runILj1024EEEvmPjPKDF16_PDF16_
	.globl	_ZN9rocsparse29copy_farray_mix_safe_kernel_tIjDF16_vE3runILj1024EEEvmPjPKDF16_PDF16_
	.p2align	8
	.type	_ZN9rocsparse29copy_farray_mix_safe_kernel_tIjDF16_vE3runILj1024EEEvmPjPKDF16_PDF16_,@function
_ZN9rocsparse29copy_farray_mix_safe_kernel_tIjDF16_vE3runILj1024EEEvmPjPKDF16_PDF16_: ; @_ZN9rocsparse29copy_farray_mix_safe_kernel_tIjDF16_vE3runILj1024EEEvmPjPKDF16_PDF16_
; %bb.0:
	s_endpgm
	.section	.rodata,"a",@progbits
	.p2align	6, 0x0
	.amdhsa_kernel _ZN9rocsparse29copy_farray_mix_safe_kernel_tIjDF16_vE3runILj1024EEEvmPjPKDF16_PDF16_
		.amdhsa_group_segment_fixed_size 0
		.amdhsa_private_segment_fixed_size 0
		.amdhsa_kernarg_size 32
		.amdhsa_user_sgpr_count 15
		.amdhsa_user_sgpr_dispatch_ptr 0
		.amdhsa_user_sgpr_queue_ptr 0
		.amdhsa_user_sgpr_kernarg_segment_ptr 1
		.amdhsa_user_sgpr_dispatch_id 0
		.amdhsa_user_sgpr_private_segment_size 0
		.amdhsa_wavefront_size32 1
		.amdhsa_uses_dynamic_stack 0
		.amdhsa_enable_private_segment 0
		.amdhsa_system_sgpr_workgroup_id_x 1
		.amdhsa_system_sgpr_workgroup_id_y 0
		.amdhsa_system_sgpr_workgroup_id_z 0
		.amdhsa_system_sgpr_workgroup_info 0
		.amdhsa_system_vgpr_workitem_id 0
		.amdhsa_next_free_vgpr 1
		.amdhsa_next_free_sgpr 1
		.amdhsa_reserve_vcc 0
		.amdhsa_float_round_mode_32 0
		.amdhsa_float_round_mode_16_64 0
		.amdhsa_float_denorm_mode_32 3
		.amdhsa_float_denorm_mode_16_64 3
		.amdhsa_dx10_clamp 1
		.amdhsa_ieee_mode 1
		.amdhsa_fp16_overflow 0
		.amdhsa_workgroup_processor_mode 1
		.amdhsa_memory_ordered 1
		.amdhsa_forward_progress 0
		.amdhsa_shared_vgpr_count 0
		.amdhsa_exception_fp_ieee_invalid_op 0
		.amdhsa_exception_fp_denorm_src 0
		.amdhsa_exception_fp_ieee_div_zero 0
		.amdhsa_exception_fp_ieee_overflow 0
		.amdhsa_exception_fp_ieee_underflow 0
		.amdhsa_exception_fp_ieee_inexact 0
		.amdhsa_exception_int_div_zero 0
	.end_amdhsa_kernel
	.section	.text._ZN9rocsparse29copy_farray_mix_safe_kernel_tIjDF16_vE3runILj1024EEEvmPjPKDF16_PDF16_,"axG",@progbits,_ZN9rocsparse29copy_farray_mix_safe_kernel_tIjDF16_vE3runILj1024EEEvmPjPKDF16_PDF16_,comdat
.Lfunc_end42:
	.size	_ZN9rocsparse29copy_farray_mix_safe_kernel_tIjDF16_vE3runILj1024EEEvmPjPKDF16_PDF16_, .Lfunc_end42-_ZN9rocsparse29copy_farray_mix_safe_kernel_tIjDF16_vE3runILj1024EEEvmPjPKDF16_PDF16_
                                        ; -- End function
	.section	.AMDGPU.csdata,"",@progbits
; Kernel info:
; codeLenInByte = 4
; NumSgprs: 0
; NumVgprs: 0
; ScratchSize: 0
; MemoryBound: 0
; FloatMode: 240
; IeeeMode: 1
; LDSByteSize: 0 bytes/workgroup (compile time only)
; SGPRBlocks: 0
; VGPRBlocks: 0
; NumSGPRsForWavesPerEU: 1
; NumVGPRsForWavesPerEU: 1
; Occupancy: 16
; WaveLimiterHint : 0
; COMPUTE_PGM_RSRC2:SCRATCH_EN: 0
; COMPUTE_PGM_RSRC2:USER_SGPR: 15
; COMPUTE_PGM_RSRC2:TRAP_HANDLER: 0
; COMPUTE_PGM_RSRC2:TGID_X_EN: 1
; COMPUTE_PGM_RSRC2:TGID_Y_EN: 0
; COMPUTE_PGM_RSRC2:TGID_Z_EN: 0
; COMPUTE_PGM_RSRC2:TIDIG_COMP_CNT: 0
	.section	.text._ZN9rocsparse29copy_farray_mix_safe_kernel_tIj18rocsparse_bfloat16vE3runILj1024EEEvmPjPKS1_PS1_,"axG",@progbits,_ZN9rocsparse29copy_farray_mix_safe_kernel_tIj18rocsparse_bfloat16vE3runILj1024EEEvmPjPKS1_PS1_,comdat
	.protected	_ZN9rocsparse29copy_farray_mix_safe_kernel_tIj18rocsparse_bfloat16vE3runILj1024EEEvmPjPKS1_PS1_ ; -- Begin function _ZN9rocsparse29copy_farray_mix_safe_kernel_tIj18rocsparse_bfloat16vE3runILj1024EEEvmPjPKS1_PS1_
	.globl	_ZN9rocsparse29copy_farray_mix_safe_kernel_tIj18rocsparse_bfloat16vE3runILj1024EEEvmPjPKS1_PS1_
	.p2align	8
	.type	_ZN9rocsparse29copy_farray_mix_safe_kernel_tIj18rocsparse_bfloat16vE3runILj1024EEEvmPjPKS1_PS1_,@function
_ZN9rocsparse29copy_farray_mix_safe_kernel_tIj18rocsparse_bfloat16vE3runILj1024EEEvmPjPKS1_PS1_: ; @_ZN9rocsparse29copy_farray_mix_safe_kernel_tIj18rocsparse_bfloat16vE3runILj1024EEEvmPjPKS1_PS1_
; %bb.0:
	s_endpgm
	.section	.rodata,"a",@progbits
	.p2align	6, 0x0
	.amdhsa_kernel _ZN9rocsparse29copy_farray_mix_safe_kernel_tIj18rocsparse_bfloat16vE3runILj1024EEEvmPjPKS1_PS1_
		.amdhsa_group_segment_fixed_size 0
		.amdhsa_private_segment_fixed_size 0
		.amdhsa_kernarg_size 32
		.amdhsa_user_sgpr_count 15
		.amdhsa_user_sgpr_dispatch_ptr 0
		.amdhsa_user_sgpr_queue_ptr 0
		.amdhsa_user_sgpr_kernarg_segment_ptr 1
		.amdhsa_user_sgpr_dispatch_id 0
		.amdhsa_user_sgpr_private_segment_size 0
		.amdhsa_wavefront_size32 1
		.amdhsa_uses_dynamic_stack 0
		.amdhsa_enable_private_segment 0
		.amdhsa_system_sgpr_workgroup_id_x 1
		.amdhsa_system_sgpr_workgroup_id_y 0
		.amdhsa_system_sgpr_workgroup_id_z 0
		.amdhsa_system_sgpr_workgroup_info 0
		.amdhsa_system_vgpr_workitem_id 0
		.amdhsa_next_free_vgpr 1
		.amdhsa_next_free_sgpr 1
		.amdhsa_reserve_vcc 0
		.amdhsa_float_round_mode_32 0
		.amdhsa_float_round_mode_16_64 0
		.amdhsa_float_denorm_mode_32 3
		.amdhsa_float_denorm_mode_16_64 3
		.amdhsa_dx10_clamp 1
		.amdhsa_ieee_mode 1
		.amdhsa_fp16_overflow 0
		.amdhsa_workgroup_processor_mode 1
		.amdhsa_memory_ordered 1
		.amdhsa_forward_progress 0
		.amdhsa_shared_vgpr_count 0
		.amdhsa_exception_fp_ieee_invalid_op 0
		.amdhsa_exception_fp_denorm_src 0
		.amdhsa_exception_fp_ieee_div_zero 0
		.amdhsa_exception_fp_ieee_overflow 0
		.amdhsa_exception_fp_ieee_underflow 0
		.amdhsa_exception_fp_ieee_inexact 0
		.amdhsa_exception_int_div_zero 0
	.end_amdhsa_kernel
	.section	.text._ZN9rocsparse29copy_farray_mix_safe_kernel_tIj18rocsparse_bfloat16vE3runILj1024EEEvmPjPKS1_PS1_,"axG",@progbits,_ZN9rocsparse29copy_farray_mix_safe_kernel_tIj18rocsparse_bfloat16vE3runILj1024EEEvmPjPKS1_PS1_,comdat
.Lfunc_end43:
	.size	_ZN9rocsparse29copy_farray_mix_safe_kernel_tIj18rocsparse_bfloat16vE3runILj1024EEEvmPjPKS1_PS1_, .Lfunc_end43-_ZN9rocsparse29copy_farray_mix_safe_kernel_tIj18rocsparse_bfloat16vE3runILj1024EEEvmPjPKS1_PS1_
                                        ; -- End function
	.section	.AMDGPU.csdata,"",@progbits
; Kernel info:
; codeLenInByte = 4
; NumSgprs: 0
; NumVgprs: 0
; ScratchSize: 0
; MemoryBound: 0
; FloatMode: 240
; IeeeMode: 1
; LDSByteSize: 0 bytes/workgroup (compile time only)
; SGPRBlocks: 0
; VGPRBlocks: 0
; NumSGPRsForWavesPerEU: 1
; NumVGPRsForWavesPerEU: 1
; Occupancy: 16
; WaveLimiterHint : 0
; COMPUTE_PGM_RSRC2:SCRATCH_EN: 0
; COMPUTE_PGM_RSRC2:USER_SGPR: 15
; COMPUTE_PGM_RSRC2:TRAP_HANDLER: 0
; COMPUTE_PGM_RSRC2:TGID_X_EN: 1
; COMPUTE_PGM_RSRC2:TGID_Y_EN: 0
; COMPUTE_PGM_RSRC2:TGID_Z_EN: 0
; COMPUTE_PGM_RSRC2:TIDIG_COMP_CNT: 0
	.section	.text._ZN9rocsparse29copy_farray_mix_safe_kernel_tIjfvE3runILj1024EEEvmPjPKfPf,"axG",@progbits,_ZN9rocsparse29copy_farray_mix_safe_kernel_tIjfvE3runILj1024EEEvmPjPKfPf,comdat
	.protected	_ZN9rocsparse29copy_farray_mix_safe_kernel_tIjfvE3runILj1024EEEvmPjPKfPf ; -- Begin function _ZN9rocsparse29copy_farray_mix_safe_kernel_tIjfvE3runILj1024EEEvmPjPKfPf
	.globl	_ZN9rocsparse29copy_farray_mix_safe_kernel_tIjfvE3runILj1024EEEvmPjPKfPf
	.p2align	8
	.type	_ZN9rocsparse29copy_farray_mix_safe_kernel_tIjfvE3runILj1024EEEvmPjPKfPf,@function
_ZN9rocsparse29copy_farray_mix_safe_kernel_tIjfvE3runILj1024EEEvmPjPKfPf: ; @_ZN9rocsparse29copy_farray_mix_safe_kernel_tIjfvE3runILj1024EEEvmPjPKfPf
; %bb.0:
	s_endpgm
	.section	.rodata,"a",@progbits
	.p2align	6, 0x0
	.amdhsa_kernel _ZN9rocsparse29copy_farray_mix_safe_kernel_tIjfvE3runILj1024EEEvmPjPKfPf
		.amdhsa_group_segment_fixed_size 0
		.amdhsa_private_segment_fixed_size 0
		.amdhsa_kernarg_size 32
		.amdhsa_user_sgpr_count 15
		.amdhsa_user_sgpr_dispatch_ptr 0
		.amdhsa_user_sgpr_queue_ptr 0
		.amdhsa_user_sgpr_kernarg_segment_ptr 1
		.amdhsa_user_sgpr_dispatch_id 0
		.amdhsa_user_sgpr_private_segment_size 0
		.amdhsa_wavefront_size32 1
		.amdhsa_uses_dynamic_stack 0
		.amdhsa_enable_private_segment 0
		.amdhsa_system_sgpr_workgroup_id_x 1
		.amdhsa_system_sgpr_workgroup_id_y 0
		.amdhsa_system_sgpr_workgroup_id_z 0
		.amdhsa_system_sgpr_workgroup_info 0
		.amdhsa_system_vgpr_workitem_id 0
		.amdhsa_next_free_vgpr 1
		.amdhsa_next_free_sgpr 1
		.amdhsa_reserve_vcc 0
		.amdhsa_float_round_mode_32 0
		.amdhsa_float_round_mode_16_64 0
		.amdhsa_float_denorm_mode_32 3
		.amdhsa_float_denorm_mode_16_64 3
		.amdhsa_dx10_clamp 1
		.amdhsa_ieee_mode 1
		.amdhsa_fp16_overflow 0
		.amdhsa_workgroup_processor_mode 1
		.amdhsa_memory_ordered 1
		.amdhsa_forward_progress 0
		.amdhsa_shared_vgpr_count 0
		.amdhsa_exception_fp_ieee_invalid_op 0
		.amdhsa_exception_fp_denorm_src 0
		.amdhsa_exception_fp_ieee_div_zero 0
		.amdhsa_exception_fp_ieee_overflow 0
		.amdhsa_exception_fp_ieee_underflow 0
		.amdhsa_exception_fp_ieee_inexact 0
		.amdhsa_exception_int_div_zero 0
	.end_amdhsa_kernel
	.section	.text._ZN9rocsparse29copy_farray_mix_safe_kernel_tIjfvE3runILj1024EEEvmPjPKfPf,"axG",@progbits,_ZN9rocsparse29copy_farray_mix_safe_kernel_tIjfvE3runILj1024EEEvmPjPKfPf,comdat
.Lfunc_end44:
	.size	_ZN9rocsparse29copy_farray_mix_safe_kernel_tIjfvE3runILj1024EEEvmPjPKfPf, .Lfunc_end44-_ZN9rocsparse29copy_farray_mix_safe_kernel_tIjfvE3runILj1024EEEvmPjPKfPf
                                        ; -- End function
	.section	.AMDGPU.csdata,"",@progbits
; Kernel info:
; codeLenInByte = 4
; NumSgprs: 0
; NumVgprs: 0
; ScratchSize: 0
; MemoryBound: 0
; FloatMode: 240
; IeeeMode: 1
; LDSByteSize: 0 bytes/workgroup (compile time only)
; SGPRBlocks: 0
; VGPRBlocks: 0
; NumSGPRsForWavesPerEU: 1
; NumVGPRsForWavesPerEU: 1
; Occupancy: 16
; WaveLimiterHint : 0
; COMPUTE_PGM_RSRC2:SCRATCH_EN: 0
; COMPUTE_PGM_RSRC2:USER_SGPR: 15
; COMPUTE_PGM_RSRC2:TRAP_HANDLER: 0
; COMPUTE_PGM_RSRC2:TGID_X_EN: 1
; COMPUTE_PGM_RSRC2:TGID_Y_EN: 0
; COMPUTE_PGM_RSRC2:TGID_Z_EN: 0
; COMPUTE_PGM_RSRC2:TIDIG_COMP_CNT: 0
	.section	.text._ZN9rocsparse29copy_farray_mix_safe_kernel_tIjdvE3runILj1024EEEvmPjPKdPd,"axG",@progbits,_ZN9rocsparse29copy_farray_mix_safe_kernel_tIjdvE3runILj1024EEEvmPjPKdPd,comdat
	.protected	_ZN9rocsparse29copy_farray_mix_safe_kernel_tIjdvE3runILj1024EEEvmPjPKdPd ; -- Begin function _ZN9rocsparse29copy_farray_mix_safe_kernel_tIjdvE3runILj1024EEEvmPjPKdPd
	.globl	_ZN9rocsparse29copy_farray_mix_safe_kernel_tIjdvE3runILj1024EEEvmPjPKdPd
	.p2align	8
	.type	_ZN9rocsparse29copy_farray_mix_safe_kernel_tIjdvE3runILj1024EEEvmPjPKdPd,@function
_ZN9rocsparse29copy_farray_mix_safe_kernel_tIjdvE3runILj1024EEEvmPjPKdPd: ; @_ZN9rocsparse29copy_farray_mix_safe_kernel_tIjdvE3runILj1024EEEvmPjPKdPd
; %bb.0:
	s_endpgm
	.section	.rodata,"a",@progbits
	.p2align	6, 0x0
	.amdhsa_kernel _ZN9rocsparse29copy_farray_mix_safe_kernel_tIjdvE3runILj1024EEEvmPjPKdPd
		.amdhsa_group_segment_fixed_size 0
		.amdhsa_private_segment_fixed_size 0
		.amdhsa_kernarg_size 32
		.amdhsa_user_sgpr_count 15
		.amdhsa_user_sgpr_dispatch_ptr 0
		.amdhsa_user_sgpr_queue_ptr 0
		.amdhsa_user_sgpr_kernarg_segment_ptr 1
		.amdhsa_user_sgpr_dispatch_id 0
		.amdhsa_user_sgpr_private_segment_size 0
		.amdhsa_wavefront_size32 1
		.amdhsa_uses_dynamic_stack 0
		.amdhsa_enable_private_segment 0
		.amdhsa_system_sgpr_workgroup_id_x 1
		.amdhsa_system_sgpr_workgroup_id_y 0
		.amdhsa_system_sgpr_workgroup_id_z 0
		.amdhsa_system_sgpr_workgroup_info 0
		.amdhsa_system_vgpr_workitem_id 0
		.amdhsa_next_free_vgpr 1
		.amdhsa_next_free_sgpr 1
		.amdhsa_reserve_vcc 0
		.amdhsa_float_round_mode_32 0
		.amdhsa_float_round_mode_16_64 0
		.amdhsa_float_denorm_mode_32 3
		.amdhsa_float_denorm_mode_16_64 3
		.amdhsa_dx10_clamp 1
		.amdhsa_ieee_mode 1
		.amdhsa_fp16_overflow 0
		.amdhsa_workgroup_processor_mode 1
		.amdhsa_memory_ordered 1
		.amdhsa_forward_progress 0
		.amdhsa_shared_vgpr_count 0
		.amdhsa_exception_fp_ieee_invalid_op 0
		.amdhsa_exception_fp_denorm_src 0
		.amdhsa_exception_fp_ieee_div_zero 0
		.amdhsa_exception_fp_ieee_overflow 0
		.amdhsa_exception_fp_ieee_underflow 0
		.amdhsa_exception_fp_ieee_inexact 0
		.amdhsa_exception_int_div_zero 0
	.end_amdhsa_kernel
	.section	.text._ZN9rocsparse29copy_farray_mix_safe_kernel_tIjdvE3runILj1024EEEvmPjPKdPd,"axG",@progbits,_ZN9rocsparse29copy_farray_mix_safe_kernel_tIjdvE3runILj1024EEEvmPjPKdPd,comdat
.Lfunc_end45:
	.size	_ZN9rocsparse29copy_farray_mix_safe_kernel_tIjdvE3runILj1024EEEvmPjPKdPd, .Lfunc_end45-_ZN9rocsparse29copy_farray_mix_safe_kernel_tIjdvE3runILj1024EEEvmPjPKdPd
                                        ; -- End function
	.section	.AMDGPU.csdata,"",@progbits
; Kernel info:
; codeLenInByte = 4
; NumSgprs: 0
; NumVgprs: 0
; ScratchSize: 0
; MemoryBound: 0
; FloatMode: 240
; IeeeMode: 1
; LDSByteSize: 0 bytes/workgroup (compile time only)
; SGPRBlocks: 0
; VGPRBlocks: 0
; NumSGPRsForWavesPerEU: 1
; NumVGPRsForWavesPerEU: 1
; Occupancy: 16
; WaveLimiterHint : 0
; COMPUTE_PGM_RSRC2:SCRATCH_EN: 0
; COMPUTE_PGM_RSRC2:USER_SGPR: 15
; COMPUTE_PGM_RSRC2:TRAP_HANDLER: 0
; COMPUTE_PGM_RSRC2:TGID_X_EN: 1
; COMPUTE_PGM_RSRC2:TGID_Y_EN: 0
; COMPUTE_PGM_RSRC2:TGID_Z_EN: 0
; COMPUTE_PGM_RSRC2:TIDIG_COMP_CNT: 0
	.section	.text._ZN9rocsparse29copy_farray_mix_safe_kernel_tIj21rocsparse_complex_numIfEvE3runILj1024EEEvmPjPKS2_Pf,"axG",@progbits,_ZN9rocsparse29copy_farray_mix_safe_kernel_tIj21rocsparse_complex_numIfEvE3runILj1024EEEvmPjPKS2_Pf,comdat
	.protected	_ZN9rocsparse29copy_farray_mix_safe_kernel_tIj21rocsparse_complex_numIfEvE3runILj1024EEEvmPjPKS2_Pf ; -- Begin function _ZN9rocsparse29copy_farray_mix_safe_kernel_tIj21rocsparse_complex_numIfEvE3runILj1024EEEvmPjPKS2_Pf
	.globl	_ZN9rocsparse29copy_farray_mix_safe_kernel_tIj21rocsparse_complex_numIfEvE3runILj1024EEEvmPjPKS2_Pf
	.p2align	8
	.type	_ZN9rocsparse29copy_farray_mix_safe_kernel_tIj21rocsparse_complex_numIfEvE3runILj1024EEEvmPjPKS2_Pf,@function
_ZN9rocsparse29copy_farray_mix_safe_kernel_tIj21rocsparse_complex_numIfEvE3runILj1024EEEvmPjPKS2_Pf: ; @_ZN9rocsparse29copy_farray_mix_safe_kernel_tIj21rocsparse_complex_numIfEvE3runILj1024EEEvmPjPKS2_Pf
; %bb.0:
	s_endpgm
	.section	.rodata,"a",@progbits
	.p2align	6, 0x0
	.amdhsa_kernel _ZN9rocsparse29copy_farray_mix_safe_kernel_tIj21rocsparse_complex_numIfEvE3runILj1024EEEvmPjPKS2_Pf
		.amdhsa_group_segment_fixed_size 0
		.amdhsa_private_segment_fixed_size 0
		.amdhsa_kernarg_size 32
		.amdhsa_user_sgpr_count 15
		.amdhsa_user_sgpr_dispatch_ptr 0
		.amdhsa_user_sgpr_queue_ptr 0
		.amdhsa_user_sgpr_kernarg_segment_ptr 1
		.amdhsa_user_sgpr_dispatch_id 0
		.amdhsa_user_sgpr_private_segment_size 0
		.amdhsa_wavefront_size32 1
		.amdhsa_uses_dynamic_stack 0
		.amdhsa_enable_private_segment 0
		.amdhsa_system_sgpr_workgroup_id_x 1
		.amdhsa_system_sgpr_workgroup_id_y 0
		.amdhsa_system_sgpr_workgroup_id_z 0
		.amdhsa_system_sgpr_workgroup_info 0
		.amdhsa_system_vgpr_workitem_id 0
		.amdhsa_next_free_vgpr 1
		.amdhsa_next_free_sgpr 1
		.amdhsa_reserve_vcc 0
		.amdhsa_float_round_mode_32 0
		.amdhsa_float_round_mode_16_64 0
		.amdhsa_float_denorm_mode_32 3
		.amdhsa_float_denorm_mode_16_64 3
		.amdhsa_dx10_clamp 1
		.amdhsa_ieee_mode 1
		.amdhsa_fp16_overflow 0
		.amdhsa_workgroup_processor_mode 1
		.amdhsa_memory_ordered 1
		.amdhsa_forward_progress 0
		.amdhsa_shared_vgpr_count 0
		.amdhsa_exception_fp_ieee_invalid_op 0
		.amdhsa_exception_fp_denorm_src 0
		.amdhsa_exception_fp_ieee_div_zero 0
		.amdhsa_exception_fp_ieee_overflow 0
		.amdhsa_exception_fp_ieee_underflow 0
		.amdhsa_exception_fp_ieee_inexact 0
		.amdhsa_exception_int_div_zero 0
	.end_amdhsa_kernel
	.section	.text._ZN9rocsparse29copy_farray_mix_safe_kernel_tIj21rocsparse_complex_numIfEvE3runILj1024EEEvmPjPKS2_Pf,"axG",@progbits,_ZN9rocsparse29copy_farray_mix_safe_kernel_tIj21rocsparse_complex_numIfEvE3runILj1024EEEvmPjPKS2_Pf,comdat
.Lfunc_end46:
	.size	_ZN9rocsparse29copy_farray_mix_safe_kernel_tIj21rocsparse_complex_numIfEvE3runILj1024EEEvmPjPKS2_Pf, .Lfunc_end46-_ZN9rocsparse29copy_farray_mix_safe_kernel_tIj21rocsparse_complex_numIfEvE3runILj1024EEEvmPjPKS2_Pf
                                        ; -- End function
	.section	.AMDGPU.csdata,"",@progbits
; Kernel info:
; codeLenInByte = 4
; NumSgprs: 0
; NumVgprs: 0
; ScratchSize: 0
; MemoryBound: 0
; FloatMode: 240
; IeeeMode: 1
; LDSByteSize: 0 bytes/workgroup (compile time only)
; SGPRBlocks: 0
; VGPRBlocks: 0
; NumSGPRsForWavesPerEU: 1
; NumVGPRsForWavesPerEU: 1
; Occupancy: 16
; WaveLimiterHint : 0
; COMPUTE_PGM_RSRC2:SCRATCH_EN: 0
; COMPUTE_PGM_RSRC2:USER_SGPR: 15
; COMPUTE_PGM_RSRC2:TRAP_HANDLER: 0
; COMPUTE_PGM_RSRC2:TGID_X_EN: 1
; COMPUTE_PGM_RSRC2:TGID_Y_EN: 0
; COMPUTE_PGM_RSRC2:TGID_Z_EN: 0
; COMPUTE_PGM_RSRC2:TIDIG_COMP_CNT: 0
	.section	.text._ZN9rocsparse29copy_farray_mix_safe_kernel_tIj21rocsparse_complex_numIdEvE3runILj1024EEEvmPjPKS2_Pd,"axG",@progbits,_ZN9rocsparse29copy_farray_mix_safe_kernel_tIj21rocsparse_complex_numIdEvE3runILj1024EEEvmPjPKS2_Pd,comdat
	.protected	_ZN9rocsparse29copy_farray_mix_safe_kernel_tIj21rocsparse_complex_numIdEvE3runILj1024EEEvmPjPKS2_Pd ; -- Begin function _ZN9rocsparse29copy_farray_mix_safe_kernel_tIj21rocsparse_complex_numIdEvE3runILj1024EEEvmPjPKS2_Pd
	.globl	_ZN9rocsparse29copy_farray_mix_safe_kernel_tIj21rocsparse_complex_numIdEvE3runILj1024EEEvmPjPKS2_Pd
	.p2align	8
	.type	_ZN9rocsparse29copy_farray_mix_safe_kernel_tIj21rocsparse_complex_numIdEvE3runILj1024EEEvmPjPKS2_Pd,@function
_ZN9rocsparse29copy_farray_mix_safe_kernel_tIj21rocsparse_complex_numIdEvE3runILj1024EEEvmPjPKS2_Pd: ; @_ZN9rocsparse29copy_farray_mix_safe_kernel_tIj21rocsparse_complex_numIdEvE3runILj1024EEEvmPjPKS2_Pd
; %bb.0:
	s_endpgm
	.section	.rodata,"a",@progbits
	.p2align	6, 0x0
	.amdhsa_kernel _ZN9rocsparse29copy_farray_mix_safe_kernel_tIj21rocsparse_complex_numIdEvE3runILj1024EEEvmPjPKS2_Pd
		.amdhsa_group_segment_fixed_size 0
		.amdhsa_private_segment_fixed_size 0
		.amdhsa_kernarg_size 32
		.amdhsa_user_sgpr_count 15
		.amdhsa_user_sgpr_dispatch_ptr 0
		.amdhsa_user_sgpr_queue_ptr 0
		.amdhsa_user_sgpr_kernarg_segment_ptr 1
		.amdhsa_user_sgpr_dispatch_id 0
		.amdhsa_user_sgpr_private_segment_size 0
		.amdhsa_wavefront_size32 1
		.amdhsa_uses_dynamic_stack 0
		.amdhsa_enable_private_segment 0
		.amdhsa_system_sgpr_workgroup_id_x 1
		.amdhsa_system_sgpr_workgroup_id_y 0
		.amdhsa_system_sgpr_workgroup_id_z 0
		.amdhsa_system_sgpr_workgroup_info 0
		.amdhsa_system_vgpr_workitem_id 0
		.amdhsa_next_free_vgpr 1
		.amdhsa_next_free_sgpr 1
		.amdhsa_reserve_vcc 0
		.amdhsa_float_round_mode_32 0
		.amdhsa_float_round_mode_16_64 0
		.amdhsa_float_denorm_mode_32 3
		.amdhsa_float_denorm_mode_16_64 3
		.amdhsa_dx10_clamp 1
		.amdhsa_ieee_mode 1
		.amdhsa_fp16_overflow 0
		.amdhsa_workgroup_processor_mode 1
		.amdhsa_memory_ordered 1
		.amdhsa_forward_progress 0
		.amdhsa_shared_vgpr_count 0
		.amdhsa_exception_fp_ieee_invalid_op 0
		.amdhsa_exception_fp_denorm_src 0
		.amdhsa_exception_fp_ieee_div_zero 0
		.amdhsa_exception_fp_ieee_overflow 0
		.amdhsa_exception_fp_ieee_underflow 0
		.amdhsa_exception_fp_ieee_inexact 0
		.amdhsa_exception_int_div_zero 0
	.end_amdhsa_kernel
	.section	.text._ZN9rocsparse29copy_farray_mix_safe_kernel_tIj21rocsparse_complex_numIdEvE3runILj1024EEEvmPjPKS2_Pd,"axG",@progbits,_ZN9rocsparse29copy_farray_mix_safe_kernel_tIj21rocsparse_complex_numIdEvE3runILj1024EEEvmPjPKS2_Pd,comdat
.Lfunc_end47:
	.size	_ZN9rocsparse29copy_farray_mix_safe_kernel_tIj21rocsparse_complex_numIdEvE3runILj1024EEEvmPjPKS2_Pd, .Lfunc_end47-_ZN9rocsparse29copy_farray_mix_safe_kernel_tIj21rocsparse_complex_numIdEvE3runILj1024EEEvmPjPKS2_Pd
                                        ; -- End function
	.section	.AMDGPU.csdata,"",@progbits
; Kernel info:
; codeLenInByte = 4
; NumSgprs: 0
; NumVgprs: 0
; ScratchSize: 0
; MemoryBound: 0
; FloatMode: 240
; IeeeMode: 1
; LDSByteSize: 0 bytes/workgroup (compile time only)
; SGPRBlocks: 0
; VGPRBlocks: 0
; NumSGPRsForWavesPerEU: 1
; NumVGPRsForWavesPerEU: 1
; Occupancy: 16
; WaveLimiterHint : 0
; COMPUTE_PGM_RSRC2:SCRATCH_EN: 0
; COMPUTE_PGM_RSRC2:USER_SGPR: 15
; COMPUTE_PGM_RSRC2:TRAP_HANDLER: 0
; COMPUTE_PGM_RSRC2:TGID_X_EN: 1
; COMPUTE_PGM_RSRC2:TGID_Y_EN: 0
; COMPUTE_PGM_RSRC2:TGID_Z_EN: 0
; COMPUTE_PGM_RSRC2:TIDIG_COMP_CNT: 0
	.section	.text._ZN9rocsparse29copy_farray_mix_safe_kernel_tIDF16_avE3runILj1024EEEvmPDF16_PKaPa,"axG",@progbits,_ZN9rocsparse29copy_farray_mix_safe_kernel_tIDF16_avE3runILj1024EEEvmPDF16_PKaPa,comdat
	.protected	_ZN9rocsparse29copy_farray_mix_safe_kernel_tIDF16_avE3runILj1024EEEvmPDF16_PKaPa ; -- Begin function _ZN9rocsparse29copy_farray_mix_safe_kernel_tIDF16_avE3runILj1024EEEvmPDF16_PKaPa
	.globl	_ZN9rocsparse29copy_farray_mix_safe_kernel_tIDF16_avE3runILj1024EEEvmPDF16_PKaPa
	.p2align	8
	.type	_ZN9rocsparse29copy_farray_mix_safe_kernel_tIDF16_avE3runILj1024EEEvmPDF16_PKaPa,@function
_ZN9rocsparse29copy_farray_mix_safe_kernel_tIDF16_avE3runILj1024EEEvmPDF16_PKaPa: ; @_ZN9rocsparse29copy_farray_mix_safe_kernel_tIDF16_avE3runILj1024EEEvmPDF16_PKaPa
; %bb.0:
	s_endpgm
	.section	.rodata,"a",@progbits
	.p2align	6, 0x0
	.amdhsa_kernel _ZN9rocsparse29copy_farray_mix_safe_kernel_tIDF16_avE3runILj1024EEEvmPDF16_PKaPa
		.amdhsa_group_segment_fixed_size 0
		.amdhsa_private_segment_fixed_size 0
		.amdhsa_kernarg_size 32
		.amdhsa_user_sgpr_count 15
		.amdhsa_user_sgpr_dispatch_ptr 0
		.amdhsa_user_sgpr_queue_ptr 0
		.amdhsa_user_sgpr_kernarg_segment_ptr 1
		.amdhsa_user_sgpr_dispatch_id 0
		.amdhsa_user_sgpr_private_segment_size 0
		.amdhsa_wavefront_size32 1
		.amdhsa_uses_dynamic_stack 0
		.amdhsa_enable_private_segment 0
		.amdhsa_system_sgpr_workgroup_id_x 1
		.amdhsa_system_sgpr_workgroup_id_y 0
		.amdhsa_system_sgpr_workgroup_id_z 0
		.amdhsa_system_sgpr_workgroup_info 0
		.amdhsa_system_vgpr_workitem_id 0
		.amdhsa_next_free_vgpr 1
		.amdhsa_next_free_sgpr 1
		.amdhsa_reserve_vcc 0
		.amdhsa_float_round_mode_32 0
		.amdhsa_float_round_mode_16_64 0
		.amdhsa_float_denorm_mode_32 3
		.amdhsa_float_denorm_mode_16_64 3
		.amdhsa_dx10_clamp 1
		.amdhsa_ieee_mode 1
		.amdhsa_fp16_overflow 0
		.amdhsa_workgroup_processor_mode 1
		.amdhsa_memory_ordered 1
		.amdhsa_forward_progress 0
		.amdhsa_shared_vgpr_count 0
		.amdhsa_exception_fp_ieee_invalid_op 0
		.amdhsa_exception_fp_denorm_src 0
		.amdhsa_exception_fp_ieee_div_zero 0
		.amdhsa_exception_fp_ieee_overflow 0
		.amdhsa_exception_fp_ieee_underflow 0
		.amdhsa_exception_fp_ieee_inexact 0
		.amdhsa_exception_int_div_zero 0
	.end_amdhsa_kernel
	.section	.text._ZN9rocsparse29copy_farray_mix_safe_kernel_tIDF16_avE3runILj1024EEEvmPDF16_PKaPa,"axG",@progbits,_ZN9rocsparse29copy_farray_mix_safe_kernel_tIDF16_avE3runILj1024EEEvmPDF16_PKaPa,comdat
.Lfunc_end48:
	.size	_ZN9rocsparse29copy_farray_mix_safe_kernel_tIDF16_avE3runILj1024EEEvmPDF16_PKaPa, .Lfunc_end48-_ZN9rocsparse29copy_farray_mix_safe_kernel_tIDF16_avE3runILj1024EEEvmPDF16_PKaPa
                                        ; -- End function
	.section	.AMDGPU.csdata,"",@progbits
; Kernel info:
; codeLenInByte = 4
; NumSgprs: 0
; NumVgprs: 0
; ScratchSize: 0
; MemoryBound: 0
; FloatMode: 240
; IeeeMode: 1
; LDSByteSize: 0 bytes/workgroup (compile time only)
; SGPRBlocks: 0
; VGPRBlocks: 0
; NumSGPRsForWavesPerEU: 1
; NumVGPRsForWavesPerEU: 1
; Occupancy: 16
; WaveLimiterHint : 0
; COMPUTE_PGM_RSRC2:SCRATCH_EN: 0
; COMPUTE_PGM_RSRC2:USER_SGPR: 15
; COMPUTE_PGM_RSRC2:TRAP_HANDLER: 0
; COMPUTE_PGM_RSRC2:TGID_X_EN: 1
; COMPUTE_PGM_RSRC2:TGID_Y_EN: 0
; COMPUTE_PGM_RSRC2:TGID_Z_EN: 0
; COMPUTE_PGM_RSRC2:TIDIG_COMP_CNT: 0
	.section	.text._ZN9rocsparse29copy_farray_mix_safe_kernel_tIDF16_hvE3runILj1024EEEvmPDF16_PKhPh,"axG",@progbits,_ZN9rocsparse29copy_farray_mix_safe_kernel_tIDF16_hvE3runILj1024EEEvmPDF16_PKhPh,comdat
	.protected	_ZN9rocsparse29copy_farray_mix_safe_kernel_tIDF16_hvE3runILj1024EEEvmPDF16_PKhPh ; -- Begin function _ZN9rocsparse29copy_farray_mix_safe_kernel_tIDF16_hvE3runILj1024EEEvmPDF16_PKhPh
	.globl	_ZN9rocsparse29copy_farray_mix_safe_kernel_tIDF16_hvE3runILj1024EEEvmPDF16_PKhPh
	.p2align	8
	.type	_ZN9rocsparse29copy_farray_mix_safe_kernel_tIDF16_hvE3runILj1024EEEvmPDF16_PKhPh,@function
_ZN9rocsparse29copy_farray_mix_safe_kernel_tIDF16_hvE3runILj1024EEEvmPDF16_PKhPh: ; @_ZN9rocsparse29copy_farray_mix_safe_kernel_tIDF16_hvE3runILj1024EEEvmPDF16_PKhPh
; %bb.0:
	s_endpgm
	.section	.rodata,"a",@progbits
	.p2align	6, 0x0
	.amdhsa_kernel _ZN9rocsparse29copy_farray_mix_safe_kernel_tIDF16_hvE3runILj1024EEEvmPDF16_PKhPh
		.amdhsa_group_segment_fixed_size 0
		.amdhsa_private_segment_fixed_size 0
		.amdhsa_kernarg_size 32
		.amdhsa_user_sgpr_count 15
		.amdhsa_user_sgpr_dispatch_ptr 0
		.amdhsa_user_sgpr_queue_ptr 0
		.amdhsa_user_sgpr_kernarg_segment_ptr 1
		.amdhsa_user_sgpr_dispatch_id 0
		.amdhsa_user_sgpr_private_segment_size 0
		.amdhsa_wavefront_size32 1
		.amdhsa_uses_dynamic_stack 0
		.amdhsa_enable_private_segment 0
		.amdhsa_system_sgpr_workgroup_id_x 1
		.amdhsa_system_sgpr_workgroup_id_y 0
		.amdhsa_system_sgpr_workgroup_id_z 0
		.amdhsa_system_sgpr_workgroup_info 0
		.amdhsa_system_vgpr_workitem_id 0
		.amdhsa_next_free_vgpr 1
		.amdhsa_next_free_sgpr 1
		.amdhsa_reserve_vcc 0
		.amdhsa_float_round_mode_32 0
		.amdhsa_float_round_mode_16_64 0
		.amdhsa_float_denorm_mode_32 3
		.amdhsa_float_denorm_mode_16_64 3
		.amdhsa_dx10_clamp 1
		.amdhsa_ieee_mode 1
		.amdhsa_fp16_overflow 0
		.amdhsa_workgroup_processor_mode 1
		.amdhsa_memory_ordered 1
		.amdhsa_forward_progress 0
		.amdhsa_shared_vgpr_count 0
		.amdhsa_exception_fp_ieee_invalid_op 0
		.amdhsa_exception_fp_denorm_src 0
		.amdhsa_exception_fp_ieee_div_zero 0
		.amdhsa_exception_fp_ieee_overflow 0
		.amdhsa_exception_fp_ieee_underflow 0
		.amdhsa_exception_fp_ieee_inexact 0
		.amdhsa_exception_int_div_zero 0
	.end_amdhsa_kernel
	.section	.text._ZN9rocsparse29copy_farray_mix_safe_kernel_tIDF16_hvE3runILj1024EEEvmPDF16_PKhPh,"axG",@progbits,_ZN9rocsparse29copy_farray_mix_safe_kernel_tIDF16_hvE3runILj1024EEEvmPDF16_PKhPh,comdat
.Lfunc_end49:
	.size	_ZN9rocsparse29copy_farray_mix_safe_kernel_tIDF16_hvE3runILj1024EEEvmPDF16_PKhPh, .Lfunc_end49-_ZN9rocsparse29copy_farray_mix_safe_kernel_tIDF16_hvE3runILj1024EEEvmPDF16_PKhPh
                                        ; -- End function
	.section	.AMDGPU.csdata,"",@progbits
; Kernel info:
; codeLenInByte = 4
; NumSgprs: 0
; NumVgprs: 0
; ScratchSize: 0
; MemoryBound: 0
; FloatMode: 240
; IeeeMode: 1
; LDSByteSize: 0 bytes/workgroup (compile time only)
; SGPRBlocks: 0
; VGPRBlocks: 0
; NumSGPRsForWavesPerEU: 1
; NumVGPRsForWavesPerEU: 1
; Occupancy: 16
; WaveLimiterHint : 0
; COMPUTE_PGM_RSRC2:SCRATCH_EN: 0
; COMPUTE_PGM_RSRC2:USER_SGPR: 15
; COMPUTE_PGM_RSRC2:TRAP_HANDLER: 0
; COMPUTE_PGM_RSRC2:TGID_X_EN: 1
; COMPUTE_PGM_RSRC2:TGID_Y_EN: 0
; COMPUTE_PGM_RSRC2:TGID_Z_EN: 0
; COMPUTE_PGM_RSRC2:TIDIG_COMP_CNT: 0
	.section	.text._ZN9rocsparse29copy_farray_mix_safe_kernel_tIDF16_ivE3runILj1024EEEvmPDF16_PKiPi,"axG",@progbits,_ZN9rocsparse29copy_farray_mix_safe_kernel_tIDF16_ivE3runILj1024EEEvmPDF16_PKiPi,comdat
	.protected	_ZN9rocsparse29copy_farray_mix_safe_kernel_tIDF16_ivE3runILj1024EEEvmPDF16_PKiPi ; -- Begin function _ZN9rocsparse29copy_farray_mix_safe_kernel_tIDF16_ivE3runILj1024EEEvmPDF16_PKiPi
	.globl	_ZN9rocsparse29copy_farray_mix_safe_kernel_tIDF16_ivE3runILj1024EEEvmPDF16_PKiPi
	.p2align	8
	.type	_ZN9rocsparse29copy_farray_mix_safe_kernel_tIDF16_ivE3runILj1024EEEvmPDF16_PKiPi,@function
_ZN9rocsparse29copy_farray_mix_safe_kernel_tIDF16_ivE3runILj1024EEEvmPDF16_PKiPi: ; @_ZN9rocsparse29copy_farray_mix_safe_kernel_tIDF16_ivE3runILj1024EEEvmPDF16_PKiPi
; %bb.0:
	s_endpgm
	.section	.rodata,"a",@progbits
	.p2align	6, 0x0
	.amdhsa_kernel _ZN9rocsparse29copy_farray_mix_safe_kernel_tIDF16_ivE3runILj1024EEEvmPDF16_PKiPi
		.amdhsa_group_segment_fixed_size 0
		.amdhsa_private_segment_fixed_size 0
		.amdhsa_kernarg_size 32
		.amdhsa_user_sgpr_count 15
		.amdhsa_user_sgpr_dispatch_ptr 0
		.amdhsa_user_sgpr_queue_ptr 0
		.amdhsa_user_sgpr_kernarg_segment_ptr 1
		.amdhsa_user_sgpr_dispatch_id 0
		.amdhsa_user_sgpr_private_segment_size 0
		.amdhsa_wavefront_size32 1
		.amdhsa_uses_dynamic_stack 0
		.amdhsa_enable_private_segment 0
		.amdhsa_system_sgpr_workgroup_id_x 1
		.amdhsa_system_sgpr_workgroup_id_y 0
		.amdhsa_system_sgpr_workgroup_id_z 0
		.amdhsa_system_sgpr_workgroup_info 0
		.amdhsa_system_vgpr_workitem_id 0
		.amdhsa_next_free_vgpr 1
		.amdhsa_next_free_sgpr 1
		.amdhsa_reserve_vcc 0
		.amdhsa_float_round_mode_32 0
		.amdhsa_float_round_mode_16_64 0
		.amdhsa_float_denorm_mode_32 3
		.amdhsa_float_denorm_mode_16_64 3
		.amdhsa_dx10_clamp 1
		.amdhsa_ieee_mode 1
		.amdhsa_fp16_overflow 0
		.amdhsa_workgroup_processor_mode 1
		.amdhsa_memory_ordered 1
		.amdhsa_forward_progress 0
		.amdhsa_shared_vgpr_count 0
		.amdhsa_exception_fp_ieee_invalid_op 0
		.amdhsa_exception_fp_denorm_src 0
		.amdhsa_exception_fp_ieee_div_zero 0
		.amdhsa_exception_fp_ieee_overflow 0
		.amdhsa_exception_fp_ieee_underflow 0
		.amdhsa_exception_fp_ieee_inexact 0
		.amdhsa_exception_int_div_zero 0
	.end_amdhsa_kernel
	.section	.text._ZN9rocsparse29copy_farray_mix_safe_kernel_tIDF16_ivE3runILj1024EEEvmPDF16_PKiPi,"axG",@progbits,_ZN9rocsparse29copy_farray_mix_safe_kernel_tIDF16_ivE3runILj1024EEEvmPDF16_PKiPi,comdat
.Lfunc_end50:
	.size	_ZN9rocsparse29copy_farray_mix_safe_kernel_tIDF16_ivE3runILj1024EEEvmPDF16_PKiPi, .Lfunc_end50-_ZN9rocsparse29copy_farray_mix_safe_kernel_tIDF16_ivE3runILj1024EEEvmPDF16_PKiPi
                                        ; -- End function
	.section	.AMDGPU.csdata,"",@progbits
; Kernel info:
; codeLenInByte = 4
; NumSgprs: 0
; NumVgprs: 0
; ScratchSize: 0
; MemoryBound: 0
; FloatMode: 240
; IeeeMode: 1
; LDSByteSize: 0 bytes/workgroup (compile time only)
; SGPRBlocks: 0
; VGPRBlocks: 0
; NumSGPRsForWavesPerEU: 1
; NumVGPRsForWavesPerEU: 1
; Occupancy: 16
; WaveLimiterHint : 0
; COMPUTE_PGM_RSRC2:SCRATCH_EN: 0
; COMPUTE_PGM_RSRC2:USER_SGPR: 15
; COMPUTE_PGM_RSRC2:TRAP_HANDLER: 0
; COMPUTE_PGM_RSRC2:TGID_X_EN: 1
; COMPUTE_PGM_RSRC2:TGID_Y_EN: 0
; COMPUTE_PGM_RSRC2:TGID_Z_EN: 0
; COMPUTE_PGM_RSRC2:TIDIG_COMP_CNT: 0
	.section	.text._ZN9rocsparse29copy_farray_mix_safe_kernel_tIDF16_jvE3runILj1024EEEvmPDF16_PKjPj,"axG",@progbits,_ZN9rocsparse29copy_farray_mix_safe_kernel_tIDF16_jvE3runILj1024EEEvmPDF16_PKjPj,comdat
	.protected	_ZN9rocsparse29copy_farray_mix_safe_kernel_tIDF16_jvE3runILj1024EEEvmPDF16_PKjPj ; -- Begin function _ZN9rocsparse29copy_farray_mix_safe_kernel_tIDF16_jvE3runILj1024EEEvmPDF16_PKjPj
	.globl	_ZN9rocsparse29copy_farray_mix_safe_kernel_tIDF16_jvE3runILj1024EEEvmPDF16_PKjPj
	.p2align	8
	.type	_ZN9rocsparse29copy_farray_mix_safe_kernel_tIDF16_jvE3runILj1024EEEvmPDF16_PKjPj,@function
_ZN9rocsparse29copy_farray_mix_safe_kernel_tIDF16_jvE3runILj1024EEEvmPDF16_PKjPj: ; @_ZN9rocsparse29copy_farray_mix_safe_kernel_tIDF16_jvE3runILj1024EEEvmPDF16_PKjPj
; %bb.0:
	s_endpgm
	.section	.rodata,"a",@progbits
	.p2align	6, 0x0
	.amdhsa_kernel _ZN9rocsparse29copy_farray_mix_safe_kernel_tIDF16_jvE3runILj1024EEEvmPDF16_PKjPj
		.amdhsa_group_segment_fixed_size 0
		.amdhsa_private_segment_fixed_size 0
		.amdhsa_kernarg_size 32
		.amdhsa_user_sgpr_count 15
		.amdhsa_user_sgpr_dispatch_ptr 0
		.amdhsa_user_sgpr_queue_ptr 0
		.amdhsa_user_sgpr_kernarg_segment_ptr 1
		.amdhsa_user_sgpr_dispatch_id 0
		.amdhsa_user_sgpr_private_segment_size 0
		.amdhsa_wavefront_size32 1
		.amdhsa_uses_dynamic_stack 0
		.amdhsa_enable_private_segment 0
		.amdhsa_system_sgpr_workgroup_id_x 1
		.amdhsa_system_sgpr_workgroup_id_y 0
		.amdhsa_system_sgpr_workgroup_id_z 0
		.amdhsa_system_sgpr_workgroup_info 0
		.amdhsa_system_vgpr_workitem_id 0
		.amdhsa_next_free_vgpr 1
		.amdhsa_next_free_sgpr 1
		.amdhsa_reserve_vcc 0
		.amdhsa_float_round_mode_32 0
		.amdhsa_float_round_mode_16_64 0
		.amdhsa_float_denorm_mode_32 3
		.amdhsa_float_denorm_mode_16_64 3
		.amdhsa_dx10_clamp 1
		.amdhsa_ieee_mode 1
		.amdhsa_fp16_overflow 0
		.amdhsa_workgroup_processor_mode 1
		.amdhsa_memory_ordered 1
		.amdhsa_forward_progress 0
		.amdhsa_shared_vgpr_count 0
		.amdhsa_exception_fp_ieee_invalid_op 0
		.amdhsa_exception_fp_denorm_src 0
		.amdhsa_exception_fp_ieee_div_zero 0
		.amdhsa_exception_fp_ieee_overflow 0
		.amdhsa_exception_fp_ieee_underflow 0
		.amdhsa_exception_fp_ieee_inexact 0
		.amdhsa_exception_int_div_zero 0
	.end_amdhsa_kernel
	.section	.text._ZN9rocsparse29copy_farray_mix_safe_kernel_tIDF16_jvE3runILj1024EEEvmPDF16_PKjPj,"axG",@progbits,_ZN9rocsparse29copy_farray_mix_safe_kernel_tIDF16_jvE3runILj1024EEEvmPDF16_PKjPj,comdat
.Lfunc_end51:
	.size	_ZN9rocsparse29copy_farray_mix_safe_kernel_tIDF16_jvE3runILj1024EEEvmPDF16_PKjPj, .Lfunc_end51-_ZN9rocsparse29copy_farray_mix_safe_kernel_tIDF16_jvE3runILj1024EEEvmPDF16_PKjPj
                                        ; -- End function
	.section	.AMDGPU.csdata,"",@progbits
; Kernel info:
; codeLenInByte = 4
; NumSgprs: 0
; NumVgprs: 0
; ScratchSize: 0
; MemoryBound: 0
; FloatMode: 240
; IeeeMode: 1
; LDSByteSize: 0 bytes/workgroup (compile time only)
; SGPRBlocks: 0
; VGPRBlocks: 0
; NumSGPRsForWavesPerEU: 1
; NumVGPRsForWavesPerEU: 1
; Occupancy: 16
; WaveLimiterHint : 0
; COMPUTE_PGM_RSRC2:SCRATCH_EN: 0
; COMPUTE_PGM_RSRC2:USER_SGPR: 15
; COMPUTE_PGM_RSRC2:TRAP_HANDLER: 0
; COMPUTE_PGM_RSRC2:TGID_X_EN: 1
; COMPUTE_PGM_RSRC2:TGID_Y_EN: 0
; COMPUTE_PGM_RSRC2:TGID_Z_EN: 0
; COMPUTE_PGM_RSRC2:TIDIG_COMP_CNT: 0
	.section	.text._ZN9rocsparse29copy_farray_mix_safe_kernel_tIDF16_DF16_vE3runILj1024EEEvmPDF16_PKDF16_S3_,"axG",@progbits,_ZN9rocsparse29copy_farray_mix_safe_kernel_tIDF16_DF16_vE3runILj1024EEEvmPDF16_PKDF16_S3_,comdat
	.protected	_ZN9rocsparse29copy_farray_mix_safe_kernel_tIDF16_DF16_vE3runILj1024EEEvmPDF16_PKDF16_S3_ ; -- Begin function _ZN9rocsparse29copy_farray_mix_safe_kernel_tIDF16_DF16_vE3runILj1024EEEvmPDF16_PKDF16_S3_
	.globl	_ZN9rocsparse29copy_farray_mix_safe_kernel_tIDF16_DF16_vE3runILj1024EEEvmPDF16_PKDF16_S3_
	.p2align	8
	.type	_ZN9rocsparse29copy_farray_mix_safe_kernel_tIDF16_DF16_vE3runILj1024EEEvmPDF16_PKDF16_S3_,@function
_ZN9rocsparse29copy_farray_mix_safe_kernel_tIDF16_DF16_vE3runILj1024EEEvmPDF16_PKDF16_S3_: ; @_ZN9rocsparse29copy_farray_mix_safe_kernel_tIDF16_DF16_vE3runILj1024EEEvmPDF16_PKDF16_S3_
; %bb.0:
	s_load_b128 s[4:7], s[0:1], 0x0
	v_lshl_or_b32 v0, s15, 10, v0
	v_mov_b32_e32 v1, 0
	s_mov_b32 s2, exec_lo
	s_waitcnt lgkmcnt(0)
	s_delay_alu instid0(VALU_DEP_1)
	v_cmpx_gt_u64_e64 s[4:5], v[0:1]
	s_cbranch_execz .LBB52_2
; %bb.1:
	s_load_b64 s[0:1], s[0:1], 0x10
	v_lshlrev_b64 v[0:1], 1, v[0:1]
	s_waitcnt lgkmcnt(0)
	s_delay_alu instid0(VALU_DEP_1) | instskip(NEXT) | instid1(VALU_DEP_2)
	v_add_co_u32 v2, vcc_lo, s0, v0
	v_add_co_ci_u32_e32 v3, vcc_lo, s1, v1, vcc_lo
	v_add_co_u32 v0, vcc_lo, s6, v0
	v_add_co_ci_u32_e32 v1, vcc_lo, s7, v1, vcc_lo
	global_load_u16 v2, v[2:3], off
	s_waitcnt vmcnt(0)
	global_store_b16 v[0:1], v2, off
.LBB52_2:
	s_nop 0
	s_sendmsg sendmsg(MSG_DEALLOC_VGPRS)
	s_endpgm
	.section	.rodata,"a",@progbits
	.p2align	6, 0x0
	.amdhsa_kernel _ZN9rocsparse29copy_farray_mix_safe_kernel_tIDF16_DF16_vE3runILj1024EEEvmPDF16_PKDF16_S3_
		.amdhsa_group_segment_fixed_size 0
		.amdhsa_private_segment_fixed_size 0
		.amdhsa_kernarg_size 32
		.amdhsa_user_sgpr_count 15
		.amdhsa_user_sgpr_dispatch_ptr 0
		.amdhsa_user_sgpr_queue_ptr 0
		.amdhsa_user_sgpr_kernarg_segment_ptr 1
		.amdhsa_user_sgpr_dispatch_id 0
		.amdhsa_user_sgpr_private_segment_size 0
		.amdhsa_wavefront_size32 1
		.amdhsa_uses_dynamic_stack 0
		.amdhsa_enable_private_segment 0
		.amdhsa_system_sgpr_workgroup_id_x 1
		.amdhsa_system_sgpr_workgroup_id_y 0
		.amdhsa_system_sgpr_workgroup_id_z 0
		.amdhsa_system_sgpr_workgroup_info 0
		.amdhsa_system_vgpr_workitem_id 0
		.amdhsa_next_free_vgpr 4
		.amdhsa_next_free_sgpr 16
		.amdhsa_reserve_vcc 1
		.amdhsa_float_round_mode_32 0
		.amdhsa_float_round_mode_16_64 0
		.amdhsa_float_denorm_mode_32 3
		.amdhsa_float_denorm_mode_16_64 3
		.amdhsa_dx10_clamp 1
		.amdhsa_ieee_mode 1
		.amdhsa_fp16_overflow 0
		.amdhsa_workgroup_processor_mode 1
		.amdhsa_memory_ordered 1
		.amdhsa_forward_progress 0
		.amdhsa_shared_vgpr_count 0
		.amdhsa_exception_fp_ieee_invalid_op 0
		.amdhsa_exception_fp_denorm_src 0
		.amdhsa_exception_fp_ieee_div_zero 0
		.amdhsa_exception_fp_ieee_overflow 0
		.amdhsa_exception_fp_ieee_underflow 0
		.amdhsa_exception_fp_ieee_inexact 0
		.amdhsa_exception_int_div_zero 0
	.end_amdhsa_kernel
	.section	.text._ZN9rocsparse29copy_farray_mix_safe_kernel_tIDF16_DF16_vE3runILj1024EEEvmPDF16_PKDF16_S3_,"axG",@progbits,_ZN9rocsparse29copy_farray_mix_safe_kernel_tIDF16_DF16_vE3runILj1024EEEvmPDF16_PKDF16_S3_,comdat
.Lfunc_end52:
	.size	_ZN9rocsparse29copy_farray_mix_safe_kernel_tIDF16_DF16_vE3runILj1024EEEvmPDF16_PKDF16_S3_, .Lfunc_end52-_ZN9rocsparse29copy_farray_mix_safe_kernel_tIDF16_DF16_vE3runILj1024EEEvmPDF16_PKDF16_S3_
                                        ; -- End function
	.section	.AMDGPU.csdata,"",@progbits
; Kernel info:
; codeLenInByte = 124
; NumSgprs: 18
; NumVgprs: 4
; ScratchSize: 0
; MemoryBound: 0
; FloatMode: 240
; IeeeMode: 1
; LDSByteSize: 0 bytes/workgroup (compile time only)
; SGPRBlocks: 2
; VGPRBlocks: 0
; NumSGPRsForWavesPerEU: 18
; NumVGPRsForWavesPerEU: 4
; Occupancy: 16
; WaveLimiterHint : 0
; COMPUTE_PGM_RSRC2:SCRATCH_EN: 0
; COMPUTE_PGM_RSRC2:USER_SGPR: 15
; COMPUTE_PGM_RSRC2:TRAP_HANDLER: 0
; COMPUTE_PGM_RSRC2:TGID_X_EN: 1
; COMPUTE_PGM_RSRC2:TGID_Y_EN: 0
; COMPUTE_PGM_RSRC2:TGID_Z_EN: 0
; COMPUTE_PGM_RSRC2:TIDIG_COMP_CNT: 0
	.section	.text._ZN9rocsparse29copy_farray_mix_safe_kernel_tIDF16_18rocsparse_bfloat16vE3runILj1024EEEvmPDF16_PKS1_PS1_,"axG",@progbits,_ZN9rocsparse29copy_farray_mix_safe_kernel_tIDF16_18rocsparse_bfloat16vE3runILj1024EEEvmPDF16_PKS1_PS1_,comdat
	.protected	_ZN9rocsparse29copy_farray_mix_safe_kernel_tIDF16_18rocsparse_bfloat16vE3runILj1024EEEvmPDF16_PKS1_PS1_ ; -- Begin function _ZN9rocsparse29copy_farray_mix_safe_kernel_tIDF16_18rocsparse_bfloat16vE3runILj1024EEEvmPDF16_PKS1_PS1_
	.globl	_ZN9rocsparse29copy_farray_mix_safe_kernel_tIDF16_18rocsparse_bfloat16vE3runILj1024EEEvmPDF16_PKS1_PS1_
	.p2align	8
	.type	_ZN9rocsparse29copy_farray_mix_safe_kernel_tIDF16_18rocsparse_bfloat16vE3runILj1024EEEvmPDF16_PKS1_PS1_,@function
_ZN9rocsparse29copy_farray_mix_safe_kernel_tIDF16_18rocsparse_bfloat16vE3runILj1024EEEvmPDF16_PKS1_PS1_: ; @_ZN9rocsparse29copy_farray_mix_safe_kernel_tIDF16_18rocsparse_bfloat16vE3runILj1024EEEvmPDF16_PKS1_PS1_
; %bb.0:
	s_endpgm
	.section	.rodata,"a",@progbits
	.p2align	6, 0x0
	.amdhsa_kernel _ZN9rocsparse29copy_farray_mix_safe_kernel_tIDF16_18rocsparse_bfloat16vE3runILj1024EEEvmPDF16_PKS1_PS1_
		.amdhsa_group_segment_fixed_size 0
		.amdhsa_private_segment_fixed_size 0
		.amdhsa_kernarg_size 32
		.amdhsa_user_sgpr_count 15
		.amdhsa_user_sgpr_dispatch_ptr 0
		.amdhsa_user_sgpr_queue_ptr 0
		.amdhsa_user_sgpr_kernarg_segment_ptr 1
		.amdhsa_user_sgpr_dispatch_id 0
		.amdhsa_user_sgpr_private_segment_size 0
		.amdhsa_wavefront_size32 1
		.amdhsa_uses_dynamic_stack 0
		.amdhsa_enable_private_segment 0
		.amdhsa_system_sgpr_workgroup_id_x 1
		.amdhsa_system_sgpr_workgroup_id_y 0
		.amdhsa_system_sgpr_workgroup_id_z 0
		.amdhsa_system_sgpr_workgroup_info 0
		.amdhsa_system_vgpr_workitem_id 0
		.amdhsa_next_free_vgpr 1
		.amdhsa_next_free_sgpr 1
		.amdhsa_reserve_vcc 0
		.amdhsa_float_round_mode_32 0
		.amdhsa_float_round_mode_16_64 0
		.amdhsa_float_denorm_mode_32 3
		.amdhsa_float_denorm_mode_16_64 3
		.amdhsa_dx10_clamp 1
		.amdhsa_ieee_mode 1
		.amdhsa_fp16_overflow 0
		.amdhsa_workgroup_processor_mode 1
		.amdhsa_memory_ordered 1
		.amdhsa_forward_progress 0
		.amdhsa_shared_vgpr_count 0
		.amdhsa_exception_fp_ieee_invalid_op 0
		.amdhsa_exception_fp_denorm_src 0
		.amdhsa_exception_fp_ieee_div_zero 0
		.amdhsa_exception_fp_ieee_overflow 0
		.amdhsa_exception_fp_ieee_underflow 0
		.amdhsa_exception_fp_ieee_inexact 0
		.amdhsa_exception_int_div_zero 0
	.end_amdhsa_kernel
	.section	.text._ZN9rocsparse29copy_farray_mix_safe_kernel_tIDF16_18rocsparse_bfloat16vE3runILj1024EEEvmPDF16_PKS1_PS1_,"axG",@progbits,_ZN9rocsparse29copy_farray_mix_safe_kernel_tIDF16_18rocsparse_bfloat16vE3runILj1024EEEvmPDF16_PKS1_PS1_,comdat
.Lfunc_end53:
	.size	_ZN9rocsparse29copy_farray_mix_safe_kernel_tIDF16_18rocsparse_bfloat16vE3runILj1024EEEvmPDF16_PKS1_PS1_, .Lfunc_end53-_ZN9rocsparse29copy_farray_mix_safe_kernel_tIDF16_18rocsparse_bfloat16vE3runILj1024EEEvmPDF16_PKS1_PS1_
                                        ; -- End function
	.section	.AMDGPU.csdata,"",@progbits
; Kernel info:
; codeLenInByte = 4
; NumSgprs: 0
; NumVgprs: 0
; ScratchSize: 0
; MemoryBound: 0
; FloatMode: 240
; IeeeMode: 1
; LDSByteSize: 0 bytes/workgroup (compile time only)
; SGPRBlocks: 0
; VGPRBlocks: 0
; NumSGPRsForWavesPerEU: 1
; NumVGPRsForWavesPerEU: 1
; Occupancy: 16
; WaveLimiterHint : 0
; COMPUTE_PGM_RSRC2:SCRATCH_EN: 0
; COMPUTE_PGM_RSRC2:USER_SGPR: 15
; COMPUTE_PGM_RSRC2:TRAP_HANDLER: 0
; COMPUTE_PGM_RSRC2:TGID_X_EN: 1
; COMPUTE_PGM_RSRC2:TGID_Y_EN: 0
; COMPUTE_PGM_RSRC2:TGID_Z_EN: 0
; COMPUTE_PGM_RSRC2:TIDIG_COMP_CNT: 0
	.section	.text._ZN9rocsparse29copy_farray_mix_safe_kernel_tIDF16_fvE3runILj1024EEEvmPDF16_PKfPf,"axG",@progbits,_ZN9rocsparse29copy_farray_mix_safe_kernel_tIDF16_fvE3runILj1024EEEvmPDF16_PKfPf,comdat
	.protected	_ZN9rocsparse29copy_farray_mix_safe_kernel_tIDF16_fvE3runILj1024EEEvmPDF16_PKfPf ; -- Begin function _ZN9rocsparse29copy_farray_mix_safe_kernel_tIDF16_fvE3runILj1024EEEvmPDF16_PKfPf
	.globl	_ZN9rocsparse29copy_farray_mix_safe_kernel_tIDF16_fvE3runILj1024EEEvmPDF16_PKfPf
	.p2align	8
	.type	_ZN9rocsparse29copy_farray_mix_safe_kernel_tIDF16_fvE3runILj1024EEEvmPDF16_PKfPf,@function
_ZN9rocsparse29copy_farray_mix_safe_kernel_tIDF16_fvE3runILj1024EEEvmPDF16_PKfPf: ; @_ZN9rocsparse29copy_farray_mix_safe_kernel_tIDF16_fvE3runILj1024EEEvmPDF16_PKfPf
; %bb.0:
	s_endpgm
	.section	.rodata,"a",@progbits
	.p2align	6, 0x0
	.amdhsa_kernel _ZN9rocsparse29copy_farray_mix_safe_kernel_tIDF16_fvE3runILj1024EEEvmPDF16_PKfPf
		.amdhsa_group_segment_fixed_size 0
		.amdhsa_private_segment_fixed_size 0
		.amdhsa_kernarg_size 32
		.amdhsa_user_sgpr_count 15
		.amdhsa_user_sgpr_dispatch_ptr 0
		.amdhsa_user_sgpr_queue_ptr 0
		.amdhsa_user_sgpr_kernarg_segment_ptr 1
		.amdhsa_user_sgpr_dispatch_id 0
		.amdhsa_user_sgpr_private_segment_size 0
		.amdhsa_wavefront_size32 1
		.amdhsa_uses_dynamic_stack 0
		.amdhsa_enable_private_segment 0
		.amdhsa_system_sgpr_workgroup_id_x 1
		.amdhsa_system_sgpr_workgroup_id_y 0
		.amdhsa_system_sgpr_workgroup_id_z 0
		.amdhsa_system_sgpr_workgroup_info 0
		.amdhsa_system_vgpr_workitem_id 0
		.amdhsa_next_free_vgpr 1
		.amdhsa_next_free_sgpr 1
		.amdhsa_reserve_vcc 0
		.amdhsa_float_round_mode_32 0
		.amdhsa_float_round_mode_16_64 0
		.amdhsa_float_denorm_mode_32 3
		.amdhsa_float_denorm_mode_16_64 3
		.amdhsa_dx10_clamp 1
		.amdhsa_ieee_mode 1
		.amdhsa_fp16_overflow 0
		.amdhsa_workgroup_processor_mode 1
		.amdhsa_memory_ordered 1
		.amdhsa_forward_progress 0
		.amdhsa_shared_vgpr_count 0
		.amdhsa_exception_fp_ieee_invalid_op 0
		.amdhsa_exception_fp_denorm_src 0
		.amdhsa_exception_fp_ieee_div_zero 0
		.amdhsa_exception_fp_ieee_overflow 0
		.amdhsa_exception_fp_ieee_underflow 0
		.amdhsa_exception_fp_ieee_inexact 0
		.amdhsa_exception_int_div_zero 0
	.end_amdhsa_kernel
	.section	.text._ZN9rocsparse29copy_farray_mix_safe_kernel_tIDF16_fvE3runILj1024EEEvmPDF16_PKfPf,"axG",@progbits,_ZN9rocsparse29copy_farray_mix_safe_kernel_tIDF16_fvE3runILj1024EEEvmPDF16_PKfPf,comdat
.Lfunc_end54:
	.size	_ZN9rocsparse29copy_farray_mix_safe_kernel_tIDF16_fvE3runILj1024EEEvmPDF16_PKfPf, .Lfunc_end54-_ZN9rocsparse29copy_farray_mix_safe_kernel_tIDF16_fvE3runILj1024EEEvmPDF16_PKfPf
                                        ; -- End function
	.section	.AMDGPU.csdata,"",@progbits
; Kernel info:
; codeLenInByte = 4
; NumSgprs: 0
; NumVgprs: 0
; ScratchSize: 0
; MemoryBound: 0
; FloatMode: 240
; IeeeMode: 1
; LDSByteSize: 0 bytes/workgroup (compile time only)
; SGPRBlocks: 0
; VGPRBlocks: 0
; NumSGPRsForWavesPerEU: 1
; NumVGPRsForWavesPerEU: 1
; Occupancy: 16
; WaveLimiterHint : 0
; COMPUTE_PGM_RSRC2:SCRATCH_EN: 0
; COMPUTE_PGM_RSRC2:USER_SGPR: 15
; COMPUTE_PGM_RSRC2:TRAP_HANDLER: 0
; COMPUTE_PGM_RSRC2:TGID_X_EN: 1
; COMPUTE_PGM_RSRC2:TGID_Y_EN: 0
; COMPUTE_PGM_RSRC2:TGID_Z_EN: 0
; COMPUTE_PGM_RSRC2:TIDIG_COMP_CNT: 0
	.section	.text._ZN9rocsparse29copy_farray_mix_safe_kernel_tIDF16_dvE3runILj1024EEEvmPDF16_PKdPd,"axG",@progbits,_ZN9rocsparse29copy_farray_mix_safe_kernel_tIDF16_dvE3runILj1024EEEvmPDF16_PKdPd,comdat
	.protected	_ZN9rocsparse29copy_farray_mix_safe_kernel_tIDF16_dvE3runILj1024EEEvmPDF16_PKdPd ; -- Begin function _ZN9rocsparse29copy_farray_mix_safe_kernel_tIDF16_dvE3runILj1024EEEvmPDF16_PKdPd
	.globl	_ZN9rocsparse29copy_farray_mix_safe_kernel_tIDF16_dvE3runILj1024EEEvmPDF16_PKdPd
	.p2align	8
	.type	_ZN9rocsparse29copy_farray_mix_safe_kernel_tIDF16_dvE3runILj1024EEEvmPDF16_PKdPd,@function
_ZN9rocsparse29copy_farray_mix_safe_kernel_tIDF16_dvE3runILj1024EEEvmPDF16_PKdPd: ; @_ZN9rocsparse29copy_farray_mix_safe_kernel_tIDF16_dvE3runILj1024EEEvmPDF16_PKdPd
; %bb.0:
	s_endpgm
	.section	.rodata,"a",@progbits
	.p2align	6, 0x0
	.amdhsa_kernel _ZN9rocsparse29copy_farray_mix_safe_kernel_tIDF16_dvE3runILj1024EEEvmPDF16_PKdPd
		.amdhsa_group_segment_fixed_size 0
		.amdhsa_private_segment_fixed_size 0
		.amdhsa_kernarg_size 32
		.amdhsa_user_sgpr_count 15
		.amdhsa_user_sgpr_dispatch_ptr 0
		.amdhsa_user_sgpr_queue_ptr 0
		.amdhsa_user_sgpr_kernarg_segment_ptr 1
		.amdhsa_user_sgpr_dispatch_id 0
		.amdhsa_user_sgpr_private_segment_size 0
		.amdhsa_wavefront_size32 1
		.amdhsa_uses_dynamic_stack 0
		.amdhsa_enable_private_segment 0
		.amdhsa_system_sgpr_workgroup_id_x 1
		.amdhsa_system_sgpr_workgroup_id_y 0
		.amdhsa_system_sgpr_workgroup_id_z 0
		.amdhsa_system_sgpr_workgroup_info 0
		.amdhsa_system_vgpr_workitem_id 0
		.amdhsa_next_free_vgpr 1
		.amdhsa_next_free_sgpr 1
		.amdhsa_reserve_vcc 0
		.amdhsa_float_round_mode_32 0
		.amdhsa_float_round_mode_16_64 0
		.amdhsa_float_denorm_mode_32 3
		.amdhsa_float_denorm_mode_16_64 3
		.amdhsa_dx10_clamp 1
		.amdhsa_ieee_mode 1
		.amdhsa_fp16_overflow 0
		.amdhsa_workgroup_processor_mode 1
		.amdhsa_memory_ordered 1
		.amdhsa_forward_progress 0
		.amdhsa_shared_vgpr_count 0
		.amdhsa_exception_fp_ieee_invalid_op 0
		.amdhsa_exception_fp_denorm_src 0
		.amdhsa_exception_fp_ieee_div_zero 0
		.amdhsa_exception_fp_ieee_overflow 0
		.amdhsa_exception_fp_ieee_underflow 0
		.amdhsa_exception_fp_ieee_inexact 0
		.amdhsa_exception_int_div_zero 0
	.end_amdhsa_kernel
	.section	.text._ZN9rocsparse29copy_farray_mix_safe_kernel_tIDF16_dvE3runILj1024EEEvmPDF16_PKdPd,"axG",@progbits,_ZN9rocsparse29copy_farray_mix_safe_kernel_tIDF16_dvE3runILj1024EEEvmPDF16_PKdPd,comdat
.Lfunc_end55:
	.size	_ZN9rocsparse29copy_farray_mix_safe_kernel_tIDF16_dvE3runILj1024EEEvmPDF16_PKdPd, .Lfunc_end55-_ZN9rocsparse29copy_farray_mix_safe_kernel_tIDF16_dvE3runILj1024EEEvmPDF16_PKdPd
                                        ; -- End function
	.section	.AMDGPU.csdata,"",@progbits
; Kernel info:
; codeLenInByte = 4
; NumSgprs: 0
; NumVgprs: 0
; ScratchSize: 0
; MemoryBound: 0
; FloatMode: 240
; IeeeMode: 1
; LDSByteSize: 0 bytes/workgroup (compile time only)
; SGPRBlocks: 0
; VGPRBlocks: 0
; NumSGPRsForWavesPerEU: 1
; NumVGPRsForWavesPerEU: 1
; Occupancy: 16
; WaveLimiterHint : 0
; COMPUTE_PGM_RSRC2:SCRATCH_EN: 0
; COMPUTE_PGM_RSRC2:USER_SGPR: 15
; COMPUTE_PGM_RSRC2:TRAP_HANDLER: 0
; COMPUTE_PGM_RSRC2:TGID_X_EN: 1
; COMPUTE_PGM_RSRC2:TGID_Y_EN: 0
; COMPUTE_PGM_RSRC2:TGID_Z_EN: 0
; COMPUTE_PGM_RSRC2:TIDIG_COMP_CNT: 0
	.section	.text._ZN9rocsparse29copy_farray_mix_safe_kernel_tIDF16_21rocsparse_complex_numIfEvE3runILj1024EEEvmPDF16_PKS2_Pf,"axG",@progbits,_ZN9rocsparse29copy_farray_mix_safe_kernel_tIDF16_21rocsparse_complex_numIfEvE3runILj1024EEEvmPDF16_PKS2_Pf,comdat
	.protected	_ZN9rocsparse29copy_farray_mix_safe_kernel_tIDF16_21rocsparse_complex_numIfEvE3runILj1024EEEvmPDF16_PKS2_Pf ; -- Begin function _ZN9rocsparse29copy_farray_mix_safe_kernel_tIDF16_21rocsparse_complex_numIfEvE3runILj1024EEEvmPDF16_PKS2_Pf
	.globl	_ZN9rocsparse29copy_farray_mix_safe_kernel_tIDF16_21rocsparse_complex_numIfEvE3runILj1024EEEvmPDF16_PKS2_Pf
	.p2align	8
	.type	_ZN9rocsparse29copy_farray_mix_safe_kernel_tIDF16_21rocsparse_complex_numIfEvE3runILj1024EEEvmPDF16_PKS2_Pf,@function
_ZN9rocsparse29copy_farray_mix_safe_kernel_tIDF16_21rocsparse_complex_numIfEvE3runILj1024EEEvmPDF16_PKS2_Pf: ; @_ZN9rocsparse29copy_farray_mix_safe_kernel_tIDF16_21rocsparse_complex_numIfEvE3runILj1024EEEvmPDF16_PKS2_Pf
; %bb.0:
	s_endpgm
	.section	.rodata,"a",@progbits
	.p2align	6, 0x0
	.amdhsa_kernel _ZN9rocsparse29copy_farray_mix_safe_kernel_tIDF16_21rocsparse_complex_numIfEvE3runILj1024EEEvmPDF16_PKS2_Pf
		.amdhsa_group_segment_fixed_size 0
		.amdhsa_private_segment_fixed_size 0
		.amdhsa_kernarg_size 32
		.amdhsa_user_sgpr_count 15
		.amdhsa_user_sgpr_dispatch_ptr 0
		.amdhsa_user_sgpr_queue_ptr 0
		.amdhsa_user_sgpr_kernarg_segment_ptr 1
		.amdhsa_user_sgpr_dispatch_id 0
		.amdhsa_user_sgpr_private_segment_size 0
		.amdhsa_wavefront_size32 1
		.amdhsa_uses_dynamic_stack 0
		.amdhsa_enable_private_segment 0
		.amdhsa_system_sgpr_workgroup_id_x 1
		.amdhsa_system_sgpr_workgroup_id_y 0
		.amdhsa_system_sgpr_workgroup_id_z 0
		.amdhsa_system_sgpr_workgroup_info 0
		.amdhsa_system_vgpr_workitem_id 0
		.amdhsa_next_free_vgpr 1
		.amdhsa_next_free_sgpr 1
		.amdhsa_reserve_vcc 0
		.amdhsa_float_round_mode_32 0
		.amdhsa_float_round_mode_16_64 0
		.amdhsa_float_denorm_mode_32 3
		.amdhsa_float_denorm_mode_16_64 3
		.amdhsa_dx10_clamp 1
		.amdhsa_ieee_mode 1
		.amdhsa_fp16_overflow 0
		.amdhsa_workgroup_processor_mode 1
		.amdhsa_memory_ordered 1
		.amdhsa_forward_progress 0
		.amdhsa_shared_vgpr_count 0
		.amdhsa_exception_fp_ieee_invalid_op 0
		.amdhsa_exception_fp_denorm_src 0
		.amdhsa_exception_fp_ieee_div_zero 0
		.amdhsa_exception_fp_ieee_overflow 0
		.amdhsa_exception_fp_ieee_underflow 0
		.amdhsa_exception_fp_ieee_inexact 0
		.amdhsa_exception_int_div_zero 0
	.end_amdhsa_kernel
	.section	.text._ZN9rocsparse29copy_farray_mix_safe_kernel_tIDF16_21rocsparse_complex_numIfEvE3runILj1024EEEvmPDF16_PKS2_Pf,"axG",@progbits,_ZN9rocsparse29copy_farray_mix_safe_kernel_tIDF16_21rocsparse_complex_numIfEvE3runILj1024EEEvmPDF16_PKS2_Pf,comdat
.Lfunc_end56:
	.size	_ZN9rocsparse29copy_farray_mix_safe_kernel_tIDF16_21rocsparse_complex_numIfEvE3runILj1024EEEvmPDF16_PKS2_Pf, .Lfunc_end56-_ZN9rocsparse29copy_farray_mix_safe_kernel_tIDF16_21rocsparse_complex_numIfEvE3runILj1024EEEvmPDF16_PKS2_Pf
                                        ; -- End function
	.section	.AMDGPU.csdata,"",@progbits
; Kernel info:
; codeLenInByte = 4
; NumSgprs: 0
; NumVgprs: 0
; ScratchSize: 0
; MemoryBound: 0
; FloatMode: 240
; IeeeMode: 1
; LDSByteSize: 0 bytes/workgroup (compile time only)
; SGPRBlocks: 0
; VGPRBlocks: 0
; NumSGPRsForWavesPerEU: 1
; NumVGPRsForWavesPerEU: 1
; Occupancy: 16
; WaveLimiterHint : 0
; COMPUTE_PGM_RSRC2:SCRATCH_EN: 0
; COMPUTE_PGM_RSRC2:USER_SGPR: 15
; COMPUTE_PGM_RSRC2:TRAP_HANDLER: 0
; COMPUTE_PGM_RSRC2:TGID_X_EN: 1
; COMPUTE_PGM_RSRC2:TGID_Y_EN: 0
; COMPUTE_PGM_RSRC2:TGID_Z_EN: 0
; COMPUTE_PGM_RSRC2:TIDIG_COMP_CNT: 0
	.section	.text._ZN9rocsparse29copy_farray_mix_safe_kernel_tIDF16_21rocsparse_complex_numIdEvE3runILj1024EEEvmPDF16_PKS2_Pd,"axG",@progbits,_ZN9rocsparse29copy_farray_mix_safe_kernel_tIDF16_21rocsparse_complex_numIdEvE3runILj1024EEEvmPDF16_PKS2_Pd,comdat
	.protected	_ZN9rocsparse29copy_farray_mix_safe_kernel_tIDF16_21rocsparse_complex_numIdEvE3runILj1024EEEvmPDF16_PKS2_Pd ; -- Begin function _ZN9rocsparse29copy_farray_mix_safe_kernel_tIDF16_21rocsparse_complex_numIdEvE3runILj1024EEEvmPDF16_PKS2_Pd
	.globl	_ZN9rocsparse29copy_farray_mix_safe_kernel_tIDF16_21rocsparse_complex_numIdEvE3runILj1024EEEvmPDF16_PKS2_Pd
	.p2align	8
	.type	_ZN9rocsparse29copy_farray_mix_safe_kernel_tIDF16_21rocsparse_complex_numIdEvE3runILj1024EEEvmPDF16_PKS2_Pd,@function
_ZN9rocsparse29copy_farray_mix_safe_kernel_tIDF16_21rocsparse_complex_numIdEvE3runILj1024EEEvmPDF16_PKS2_Pd: ; @_ZN9rocsparse29copy_farray_mix_safe_kernel_tIDF16_21rocsparse_complex_numIdEvE3runILj1024EEEvmPDF16_PKS2_Pd
; %bb.0:
	s_endpgm
	.section	.rodata,"a",@progbits
	.p2align	6, 0x0
	.amdhsa_kernel _ZN9rocsparse29copy_farray_mix_safe_kernel_tIDF16_21rocsparse_complex_numIdEvE3runILj1024EEEvmPDF16_PKS2_Pd
		.amdhsa_group_segment_fixed_size 0
		.amdhsa_private_segment_fixed_size 0
		.amdhsa_kernarg_size 32
		.amdhsa_user_sgpr_count 15
		.amdhsa_user_sgpr_dispatch_ptr 0
		.amdhsa_user_sgpr_queue_ptr 0
		.amdhsa_user_sgpr_kernarg_segment_ptr 1
		.amdhsa_user_sgpr_dispatch_id 0
		.amdhsa_user_sgpr_private_segment_size 0
		.amdhsa_wavefront_size32 1
		.amdhsa_uses_dynamic_stack 0
		.amdhsa_enable_private_segment 0
		.amdhsa_system_sgpr_workgroup_id_x 1
		.amdhsa_system_sgpr_workgroup_id_y 0
		.amdhsa_system_sgpr_workgroup_id_z 0
		.amdhsa_system_sgpr_workgroup_info 0
		.amdhsa_system_vgpr_workitem_id 0
		.amdhsa_next_free_vgpr 1
		.amdhsa_next_free_sgpr 1
		.amdhsa_reserve_vcc 0
		.amdhsa_float_round_mode_32 0
		.amdhsa_float_round_mode_16_64 0
		.amdhsa_float_denorm_mode_32 3
		.amdhsa_float_denorm_mode_16_64 3
		.amdhsa_dx10_clamp 1
		.amdhsa_ieee_mode 1
		.amdhsa_fp16_overflow 0
		.amdhsa_workgroup_processor_mode 1
		.amdhsa_memory_ordered 1
		.amdhsa_forward_progress 0
		.amdhsa_shared_vgpr_count 0
		.amdhsa_exception_fp_ieee_invalid_op 0
		.amdhsa_exception_fp_denorm_src 0
		.amdhsa_exception_fp_ieee_div_zero 0
		.amdhsa_exception_fp_ieee_overflow 0
		.amdhsa_exception_fp_ieee_underflow 0
		.amdhsa_exception_fp_ieee_inexact 0
		.amdhsa_exception_int_div_zero 0
	.end_amdhsa_kernel
	.section	.text._ZN9rocsparse29copy_farray_mix_safe_kernel_tIDF16_21rocsparse_complex_numIdEvE3runILj1024EEEvmPDF16_PKS2_Pd,"axG",@progbits,_ZN9rocsparse29copy_farray_mix_safe_kernel_tIDF16_21rocsparse_complex_numIdEvE3runILj1024EEEvmPDF16_PKS2_Pd,comdat
.Lfunc_end57:
	.size	_ZN9rocsparse29copy_farray_mix_safe_kernel_tIDF16_21rocsparse_complex_numIdEvE3runILj1024EEEvmPDF16_PKS2_Pd, .Lfunc_end57-_ZN9rocsparse29copy_farray_mix_safe_kernel_tIDF16_21rocsparse_complex_numIdEvE3runILj1024EEEvmPDF16_PKS2_Pd
                                        ; -- End function
	.section	.AMDGPU.csdata,"",@progbits
; Kernel info:
; codeLenInByte = 4
; NumSgprs: 0
; NumVgprs: 0
; ScratchSize: 0
; MemoryBound: 0
; FloatMode: 240
; IeeeMode: 1
; LDSByteSize: 0 bytes/workgroup (compile time only)
; SGPRBlocks: 0
; VGPRBlocks: 0
; NumSGPRsForWavesPerEU: 1
; NumVGPRsForWavesPerEU: 1
; Occupancy: 16
; WaveLimiterHint : 0
; COMPUTE_PGM_RSRC2:SCRATCH_EN: 0
; COMPUTE_PGM_RSRC2:USER_SGPR: 15
; COMPUTE_PGM_RSRC2:TRAP_HANDLER: 0
; COMPUTE_PGM_RSRC2:TGID_X_EN: 1
; COMPUTE_PGM_RSRC2:TGID_Y_EN: 0
; COMPUTE_PGM_RSRC2:TGID_Z_EN: 0
; COMPUTE_PGM_RSRC2:TIDIG_COMP_CNT: 0
	.section	.text._ZN9rocsparse29copy_farray_mix_safe_kernel_tI18rocsparse_bfloat16avE3runILj1024EEEvmPS1_PKaPa,"axG",@progbits,_ZN9rocsparse29copy_farray_mix_safe_kernel_tI18rocsparse_bfloat16avE3runILj1024EEEvmPS1_PKaPa,comdat
	.protected	_ZN9rocsparse29copy_farray_mix_safe_kernel_tI18rocsparse_bfloat16avE3runILj1024EEEvmPS1_PKaPa ; -- Begin function _ZN9rocsparse29copy_farray_mix_safe_kernel_tI18rocsparse_bfloat16avE3runILj1024EEEvmPS1_PKaPa
	.globl	_ZN9rocsparse29copy_farray_mix_safe_kernel_tI18rocsparse_bfloat16avE3runILj1024EEEvmPS1_PKaPa
	.p2align	8
	.type	_ZN9rocsparse29copy_farray_mix_safe_kernel_tI18rocsparse_bfloat16avE3runILj1024EEEvmPS1_PKaPa,@function
_ZN9rocsparse29copy_farray_mix_safe_kernel_tI18rocsparse_bfloat16avE3runILj1024EEEvmPS1_PKaPa: ; @_ZN9rocsparse29copy_farray_mix_safe_kernel_tI18rocsparse_bfloat16avE3runILj1024EEEvmPS1_PKaPa
; %bb.0:
	s_endpgm
	.section	.rodata,"a",@progbits
	.p2align	6, 0x0
	.amdhsa_kernel _ZN9rocsparse29copy_farray_mix_safe_kernel_tI18rocsparse_bfloat16avE3runILj1024EEEvmPS1_PKaPa
		.amdhsa_group_segment_fixed_size 0
		.amdhsa_private_segment_fixed_size 0
		.amdhsa_kernarg_size 32
		.amdhsa_user_sgpr_count 15
		.amdhsa_user_sgpr_dispatch_ptr 0
		.amdhsa_user_sgpr_queue_ptr 0
		.amdhsa_user_sgpr_kernarg_segment_ptr 1
		.amdhsa_user_sgpr_dispatch_id 0
		.amdhsa_user_sgpr_private_segment_size 0
		.amdhsa_wavefront_size32 1
		.amdhsa_uses_dynamic_stack 0
		.amdhsa_enable_private_segment 0
		.amdhsa_system_sgpr_workgroup_id_x 1
		.amdhsa_system_sgpr_workgroup_id_y 0
		.amdhsa_system_sgpr_workgroup_id_z 0
		.amdhsa_system_sgpr_workgroup_info 0
		.amdhsa_system_vgpr_workitem_id 0
		.amdhsa_next_free_vgpr 1
		.amdhsa_next_free_sgpr 1
		.amdhsa_reserve_vcc 0
		.amdhsa_float_round_mode_32 0
		.amdhsa_float_round_mode_16_64 0
		.amdhsa_float_denorm_mode_32 3
		.amdhsa_float_denorm_mode_16_64 3
		.amdhsa_dx10_clamp 1
		.amdhsa_ieee_mode 1
		.amdhsa_fp16_overflow 0
		.amdhsa_workgroup_processor_mode 1
		.amdhsa_memory_ordered 1
		.amdhsa_forward_progress 0
		.amdhsa_shared_vgpr_count 0
		.amdhsa_exception_fp_ieee_invalid_op 0
		.amdhsa_exception_fp_denorm_src 0
		.amdhsa_exception_fp_ieee_div_zero 0
		.amdhsa_exception_fp_ieee_overflow 0
		.amdhsa_exception_fp_ieee_underflow 0
		.amdhsa_exception_fp_ieee_inexact 0
		.amdhsa_exception_int_div_zero 0
	.end_amdhsa_kernel
	.section	.text._ZN9rocsparse29copy_farray_mix_safe_kernel_tI18rocsparse_bfloat16avE3runILj1024EEEvmPS1_PKaPa,"axG",@progbits,_ZN9rocsparse29copy_farray_mix_safe_kernel_tI18rocsparse_bfloat16avE3runILj1024EEEvmPS1_PKaPa,comdat
.Lfunc_end58:
	.size	_ZN9rocsparse29copy_farray_mix_safe_kernel_tI18rocsparse_bfloat16avE3runILj1024EEEvmPS1_PKaPa, .Lfunc_end58-_ZN9rocsparse29copy_farray_mix_safe_kernel_tI18rocsparse_bfloat16avE3runILj1024EEEvmPS1_PKaPa
                                        ; -- End function
	.section	.AMDGPU.csdata,"",@progbits
; Kernel info:
; codeLenInByte = 4
; NumSgprs: 0
; NumVgprs: 0
; ScratchSize: 0
; MemoryBound: 0
; FloatMode: 240
; IeeeMode: 1
; LDSByteSize: 0 bytes/workgroup (compile time only)
; SGPRBlocks: 0
; VGPRBlocks: 0
; NumSGPRsForWavesPerEU: 1
; NumVGPRsForWavesPerEU: 1
; Occupancy: 16
; WaveLimiterHint : 0
; COMPUTE_PGM_RSRC2:SCRATCH_EN: 0
; COMPUTE_PGM_RSRC2:USER_SGPR: 15
; COMPUTE_PGM_RSRC2:TRAP_HANDLER: 0
; COMPUTE_PGM_RSRC2:TGID_X_EN: 1
; COMPUTE_PGM_RSRC2:TGID_Y_EN: 0
; COMPUTE_PGM_RSRC2:TGID_Z_EN: 0
; COMPUTE_PGM_RSRC2:TIDIG_COMP_CNT: 0
	.section	.text._ZN9rocsparse29copy_farray_mix_safe_kernel_tI18rocsparse_bfloat16hvE3runILj1024EEEvmPS1_PKhPh,"axG",@progbits,_ZN9rocsparse29copy_farray_mix_safe_kernel_tI18rocsparse_bfloat16hvE3runILj1024EEEvmPS1_PKhPh,comdat
	.protected	_ZN9rocsparse29copy_farray_mix_safe_kernel_tI18rocsparse_bfloat16hvE3runILj1024EEEvmPS1_PKhPh ; -- Begin function _ZN9rocsparse29copy_farray_mix_safe_kernel_tI18rocsparse_bfloat16hvE3runILj1024EEEvmPS1_PKhPh
	.globl	_ZN9rocsparse29copy_farray_mix_safe_kernel_tI18rocsparse_bfloat16hvE3runILj1024EEEvmPS1_PKhPh
	.p2align	8
	.type	_ZN9rocsparse29copy_farray_mix_safe_kernel_tI18rocsparse_bfloat16hvE3runILj1024EEEvmPS1_PKhPh,@function
_ZN9rocsparse29copy_farray_mix_safe_kernel_tI18rocsparse_bfloat16hvE3runILj1024EEEvmPS1_PKhPh: ; @_ZN9rocsparse29copy_farray_mix_safe_kernel_tI18rocsparse_bfloat16hvE3runILj1024EEEvmPS1_PKhPh
; %bb.0:
	s_endpgm
	.section	.rodata,"a",@progbits
	.p2align	6, 0x0
	.amdhsa_kernel _ZN9rocsparse29copy_farray_mix_safe_kernel_tI18rocsparse_bfloat16hvE3runILj1024EEEvmPS1_PKhPh
		.amdhsa_group_segment_fixed_size 0
		.amdhsa_private_segment_fixed_size 0
		.amdhsa_kernarg_size 32
		.amdhsa_user_sgpr_count 15
		.amdhsa_user_sgpr_dispatch_ptr 0
		.amdhsa_user_sgpr_queue_ptr 0
		.amdhsa_user_sgpr_kernarg_segment_ptr 1
		.amdhsa_user_sgpr_dispatch_id 0
		.amdhsa_user_sgpr_private_segment_size 0
		.amdhsa_wavefront_size32 1
		.amdhsa_uses_dynamic_stack 0
		.amdhsa_enable_private_segment 0
		.amdhsa_system_sgpr_workgroup_id_x 1
		.amdhsa_system_sgpr_workgroup_id_y 0
		.amdhsa_system_sgpr_workgroup_id_z 0
		.amdhsa_system_sgpr_workgroup_info 0
		.amdhsa_system_vgpr_workitem_id 0
		.amdhsa_next_free_vgpr 1
		.amdhsa_next_free_sgpr 1
		.amdhsa_reserve_vcc 0
		.amdhsa_float_round_mode_32 0
		.amdhsa_float_round_mode_16_64 0
		.amdhsa_float_denorm_mode_32 3
		.amdhsa_float_denorm_mode_16_64 3
		.amdhsa_dx10_clamp 1
		.amdhsa_ieee_mode 1
		.amdhsa_fp16_overflow 0
		.amdhsa_workgroup_processor_mode 1
		.amdhsa_memory_ordered 1
		.amdhsa_forward_progress 0
		.amdhsa_shared_vgpr_count 0
		.amdhsa_exception_fp_ieee_invalid_op 0
		.amdhsa_exception_fp_denorm_src 0
		.amdhsa_exception_fp_ieee_div_zero 0
		.amdhsa_exception_fp_ieee_overflow 0
		.amdhsa_exception_fp_ieee_underflow 0
		.amdhsa_exception_fp_ieee_inexact 0
		.amdhsa_exception_int_div_zero 0
	.end_amdhsa_kernel
	.section	.text._ZN9rocsparse29copy_farray_mix_safe_kernel_tI18rocsparse_bfloat16hvE3runILj1024EEEvmPS1_PKhPh,"axG",@progbits,_ZN9rocsparse29copy_farray_mix_safe_kernel_tI18rocsparse_bfloat16hvE3runILj1024EEEvmPS1_PKhPh,comdat
.Lfunc_end59:
	.size	_ZN9rocsparse29copy_farray_mix_safe_kernel_tI18rocsparse_bfloat16hvE3runILj1024EEEvmPS1_PKhPh, .Lfunc_end59-_ZN9rocsparse29copy_farray_mix_safe_kernel_tI18rocsparse_bfloat16hvE3runILj1024EEEvmPS1_PKhPh
                                        ; -- End function
	.section	.AMDGPU.csdata,"",@progbits
; Kernel info:
; codeLenInByte = 4
; NumSgprs: 0
; NumVgprs: 0
; ScratchSize: 0
; MemoryBound: 0
; FloatMode: 240
; IeeeMode: 1
; LDSByteSize: 0 bytes/workgroup (compile time only)
; SGPRBlocks: 0
; VGPRBlocks: 0
; NumSGPRsForWavesPerEU: 1
; NumVGPRsForWavesPerEU: 1
; Occupancy: 16
; WaveLimiterHint : 0
; COMPUTE_PGM_RSRC2:SCRATCH_EN: 0
; COMPUTE_PGM_RSRC2:USER_SGPR: 15
; COMPUTE_PGM_RSRC2:TRAP_HANDLER: 0
; COMPUTE_PGM_RSRC2:TGID_X_EN: 1
; COMPUTE_PGM_RSRC2:TGID_Y_EN: 0
; COMPUTE_PGM_RSRC2:TGID_Z_EN: 0
; COMPUTE_PGM_RSRC2:TIDIG_COMP_CNT: 0
	.section	.text._ZN9rocsparse29copy_farray_mix_safe_kernel_tI18rocsparse_bfloat16ivE3runILj1024EEEvmPS1_PKiPi,"axG",@progbits,_ZN9rocsparse29copy_farray_mix_safe_kernel_tI18rocsparse_bfloat16ivE3runILj1024EEEvmPS1_PKiPi,comdat
	.protected	_ZN9rocsparse29copy_farray_mix_safe_kernel_tI18rocsparse_bfloat16ivE3runILj1024EEEvmPS1_PKiPi ; -- Begin function _ZN9rocsparse29copy_farray_mix_safe_kernel_tI18rocsparse_bfloat16ivE3runILj1024EEEvmPS1_PKiPi
	.globl	_ZN9rocsparse29copy_farray_mix_safe_kernel_tI18rocsparse_bfloat16ivE3runILj1024EEEvmPS1_PKiPi
	.p2align	8
	.type	_ZN9rocsparse29copy_farray_mix_safe_kernel_tI18rocsparse_bfloat16ivE3runILj1024EEEvmPS1_PKiPi,@function
_ZN9rocsparse29copy_farray_mix_safe_kernel_tI18rocsparse_bfloat16ivE3runILj1024EEEvmPS1_PKiPi: ; @_ZN9rocsparse29copy_farray_mix_safe_kernel_tI18rocsparse_bfloat16ivE3runILj1024EEEvmPS1_PKiPi
; %bb.0:
	s_endpgm
	.section	.rodata,"a",@progbits
	.p2align	6, 0x0
	.amdhsa_kernel _ZN9rocsparse29copy_farray_mix_safe_kernel_tI18rocsparse_bfloat16ivE3runILj1024EEEvmPS1_PKiPi
		.amdhsa_group_segment_fixed_size 0
		.amdhsa_private_segment_fixed_size 0
		.amdhsa_kernarg_size 32
		.amdhsa_user_sgpr_count 15
		.amdhsa_user_sgpr_dispatch_ptr 0
		.amdhsa_user_sgpr_queue_ptr 0
		.amdhsa_user_sgpr_kernarg_segment_ptr 1
		.amdhsa_user_sgpr_dispatch_id 0
		.amdhsa_user_sgpr_private_segment_size 0
		.amdhsa_wavefront_size32 1
		.amdhsa_uses_dynamic_stack 0
		.amdhsa_enable_private_segment 0
		.amdhsa_system_sgpr_workgroup_id_x 1
		.amdhsa_system_sgpr_workgroup_id_y 0
		.amdhsa_system_sgpr_workgroup_id_z 0
		.amdhsa_system_sgpr_workgroup_info 0
		.amdhsa_system_vgpr_workitem_id 0
		.amdhsa_next_free_vgpr 1
		.amdhsa_next_free_sgpr 1
		.amdhsa_reserve_vcc 0
		.amdhsa_float_round_mode_32 0
		.amdhsa_float_round_mode_16_64 0
		.amdhsa_float_denorm_mode_32 3
		.amdhsa_float_denorm_mode_16_64 3
		.amdhsa_dx10_clamp 1
		.amdhsa_ieee_mode 1
		.amdhsa_fp16_overflow 0
		.amdhsa_workgroup_processor_mode 1
		.amdhsa_memory_ordered 1
		.amdhsa_forward_progress 0
		.amdhsa_shared_vgpr_count 0
		.amdhsa_exception_fp_ieee_invalid_op 0
		.amdhsa_exception_fp_denorm_src 0
		.amdhsa_exception_fp_ieee_div_zero 0
		.amdhsa_exception_fp_ieee_overflow 0
		.amdhsa_exception_fp_ieee_underflow 0
		.amdhsa_exception_fp_ieee_inexact 0
		.amdhsa_exception_int_div_zero 0
	.end_amdhsa_kernel
	.section	.text._ZN9rocsparse29copy_farray_mix_safe_kernel_tI18rocsparse_bfloat16ivE3runILj1024EEEvmPS1_PKiPi,"axG",@progbits,_ZN9rocsparse29copy_farray_mix_safe_kernel_tI18rocsparse_bfloat16ivE3runILj1024EEEvmPS1_PKiPi,comdat
.Lfunc_end60:
	.size	_ZN9rocsparse29copy_farray_mix_safe_kernel_tI18rocsparse_bfloat16ivE3runILj1024EEEvmPS1_PKiPi, .Lfunc_end60-_ZN9rocsparse29copy_farray_mix_safe_kernel_tI18rocsparse_bfloat16ivE3runILj1024EEEvmPS1_PKiPi
                                        ; -- End function
	.section	.AMDGPU.csdata,"",@progbits
; Kernel info:
; codeLenInByte = 4
; NumSgprs: 0
; NumVgprs: 0
; ScratchSize: 0
; MemoryBound: 0
; FloatMode: 240
; IeeeMode: 1
; LDSByteSize: 0 bytes/workgroup (compile time only)
; SGPRBlocks: 0
; VGPRBlocks: 0
; NumSGPRsForWavesPerEU: 1
; NumVGPRsForWavesPerEU: 1
; Occupancy: 16
; WaveLimiterHint : 0
; COMPUTE_PGM_RSRC2:SCRATCH_EN: 0
; COMPUTE_PGM_RSRC2:USER_SGPR: 15
; COMPUTE_PGM_RSRC2:TRAP_HANDLER: 0
; COMPUTE_PGM_RSRC2:TGID_X_EN: 1
; COMPUTE_PGM_RSRC2:TGID_Y_EN: 0
; COMPUTE_PGM_RSRC2:TGID_Z_EN: 0
; COMPUTE_PGM_RSRC2:TIDIG_COMP_CNT: 0
	.section	.text._ZN9rocsparse29copy_farray_mix_safe_kernel_tI18rocsparse_bfloat16jvE3runILj1024EEEvmPS1_PKjPj,"axG",@progbits,_ZN9rocsparse29copy_farray_mix_safe_kernel_tI18rocsparse_bfloat16jvE3runILj1024EEEvmPS1_PKjPj,comdat
	.protected	_ZN9rocsparse29copy_farray_mix_safe_kernel_tI18rocsparse_bfloat16jvE3runILj1024EEEvmPS1_PKjPj ; -- Begin function _ZN9rocsparse29copy_farray_mix_safe_kernel_tI18rocsparse_bfloat16jvE3runILj1024EEEvmPS1_PKjPj
	.globl	_ZN9rocsparse29copy_farray_mix_safe_kernel_tI18rocsparse_bfloat16jvE3runILj1024EEEvmPS1_PKjPj
	.p2align	8
	.type	_ZN9rocsparse29copy_farray_mix_safe_kernel_tI18rocsparse_bfloat16jvE3runILj1024EEEvmPS1_PKjPj,@function
_ZN9rocsparse29copy_farray_mix_safe_kernel_tI18rocsparse_bfloat16jvE3runILj1024EEEvmPS1_PKjPj: ; @_ZN9rocsparse29copy_farray_mix_safe_kernel_tI18rocsparse_bfloat16jvE3runILj1024EEEvmPS1_PKjPj
; %bb.0:
	s_endpgm
	.section	.rodata,"a",@progbits
	.p2align	6, 0x0
	.amdhsa_kernel _ZN9rocsparse29copy_farray_mix_safe_kernel_tI18rocsparse_bfloat16jvE3runILj1024EEEvmPS1_PKjPj
		.amdhsa_group_segment_fixed_size 0
		.amdhsa_private_segment_fixed_size 0
		.amdhsa_kernarg_size 32
		.amdhsa_user_sgpr_count 15
		.amdhsa_user_sgpr_dispatch_ptr 0
		.amdhsa_user_sgpr_queue_ptr 0
		.amdhsa_user_sgpr_kernarg_segment_ptr 1
		.amdhsa_user_sgpr_dispatch_id 0
		.amdhsa_user_sgpr_private_segment_size 0
		.amdhsa_wavefront_size32 1
		.amdhsa_uses_dynamic_stack 0
		.amdhsa_enable_private_segment 0
		.amdhsa_system_sgpr_workgroup_id_x 1
		.amdhsa_system_sgpr_workgroup_id_y 0
		.amdhsa_system_sgpr_workgroup_id_z 0
		.amdhsa_system_sgpr_workgroup_info 0
		.amdhsa_system_vgpr_workitem_id 0
		.amdhsa_next_free_vgpr 1
		.amdhsa_next_free_sgpr 1
		.amdhsa_reserve_vcc 0
		.amdhsa_float_round_mode_32 0
		.amdhsa_float_round_mode_16_64 0
		.amdhsa_float_denorm_mode_32 3
		.amdhsa_float_denorm_mode_16_64 3
		.amdhsa_dx10_clamp 1
		.amdhsa_ieee_mode 1
		.amdhsa_fp16_overflow 0
		.amdhsa_workgroup_processor_mode 1
		.amdhsa_memory_ordered 1
		.amdhsa_forward_progress 0
		.amdhsa_shared_vgpr_count 0
		.amdhsa_exception_fp_ieee_invalid_op 0
		.amdhsa_exception_fp_denorm_src 0
		.amdhsa_exception_fp_ieee_div_zero 0
		.amdhsa_exception_fp_ieee_overflow 0
		.amdhsa_exception_fp_ieee_underflow 0
		.amdhsa_exception_fp_ieee_inexact 0
		.amdhsa_exception_int_div_zero 0
	.end_amdhsa_kernel
	.section	.text._ZN9rocsparse29copy_farray_mix_safe_kernel_tI18rocsparse_bfloat16jvE3runILj1024EEEvmPS1_PKjPj,"axG",@progbits,_ZN9rocsparse29copy_farray_mix_safe_kernel_tI18rocsparse_bfloat16jvE3runILj1024EEEvmPS1_PKjPj,comdat
.Lfunc_end61:
	.size	_ZN9rocsparse29copy_farray_mix_safe_kernel_tI18rocsparse_bfloat16jvE3runILj1024EEEvmPS1_PKjPj, .Lfunc_end61-_ZN9rocsparse29copy_farray_mix_safe_kernel_tI18rocsparse_bfloat16jvE3runILj1024EEEvmPS1_PKjPj
                                        ; -- End function
	.section	.AMDGPU.csdata,"",@progbits
; Kernel info:
; codeLenInByte = 4
; NumSgprs: 0
; NumVgprs: 0
; ScratchSize: 0
; MemoryBound: 0
; FloatMode: 240
; IeeeMode: 1
; LDSByteSize: 0 bytes/workgroup (compile time only)
; SGPRBlocks: 0
; VGPRBlocks: 0
; NumSGPRsForWavesPerEU: 1
; NumVGPRsForWavesPerEU: 1
; Occupancy: 16
; WaveLimiterHint : 0
; COMPUTE_PGM_RSRC2:SCRATCH_EN: 0
; COMPUTE_PGM_RSRC2:USER_SGPR: 15
; COMPUTE_PGM_RSRC2:TRAP_HANDLER: 0
; COMPUTE_PGM_RSRC2:TGID_X_EN: 1
; COMPUTE_PGM_RSRC2:TGID_Y_EN: 0
; COMPUTE_PGM_RSRC2:TGID_Z_EN: 0
; COMPUTE_PGM_RSRC2:TIDIG_COMP_CNT: 0
	.section	.text._ZN9rocsparse29copy_farray_mix_safe_kernel_tI18rocsparse_bfloat16DF16_vE3runILj1024EEEvmPS1_PKDF16_PDF16_,"axG",@progbits,_ZN9rocsparse29copy_farray_mix_safe_kernel_tI18rocsparse_bfloat16DF16_vE3runILj1024EEEvmPS1_PKDF16_PDF16_,comdat
	.protected	_ZN9rocsparse29copy_farray_mix_safe_kernel_tI18rocsparse_bfloat16DF16_vE3runILj1024EEEvmPS1_PKDF16_PDF16_ ; -- Begin function _ZN9rocsparse29copy_farray_mix_safe_kernel_tI18rocsparse_bfloat16DF16_vE3runILj1024EEEvmPS1_PKDF16_PDF16_
	.globl	_ZN9rocsparse29copy_farray_mix_safe_kernel_tI18rocsparse_bfloat16DF16_vE3runILj1024EEEvmPS1_PKDF16_PDF16_
	.p2align	8
	.type	_ZN9rocsparse29copy_farray_mix_safe_kernel_tI18rocsparse_bfloat16DF16_vE3runILj1024EEEvmPS1_PKDF16_PDF16_,@function
_ZN9rocsparse29copy_farray_mix_safe_kernel_tI18rocsparse_bfloat16DF16_vE3runILj1024EEEvmPS1_PKDF16_PDF16_: ; @_ZN9rocsparse29copy_farray_mix_safe_kernel_tI18rocsparse_bfloat16DF16_vE3runILj1024EEEvmPS1_PKDF16_PDF16_
; %bb.0:
	s_endpgm
	.section	.rodata,"a",@progbits
	.p2align	6, 0x0
	.amdhsa_kernel _ZN9rocsparse29copy_farray_mix_safe_kernel_tI18rocsparse_bfloat16DF16_vE3runILj1024EEEvmPS1_PKDF16_PDF16_
		.amdhsa_group_segment_fixed_size 0
		.amdhsa_private_segment_fixed_size 0
		.amdhsa_kernarg_size 32
		.amdhsa_user_sgpr_count 15
		.amdhsa_user_sgpr_dispatch_ptr 0
		.amdhsa_user_sgpr_queue_ptr 0
		.amdhsa_user_sgpr_kernarg_segment_ptr 1
		.amdhsa_user_sgpr_dispatch_id 0
		.amdhsa_user_sgpr_private_segment_size 0
		.amdhsa_wavefront_size32 1
		.amdhsa_uses_dynamic_stack 0
		.amdhsa_enable_private_segment 0
		.amdhsa_system_sgpr_workgroup_id_x 1
		.amdhsa_system_sgpr_workgroup_id_y 0
		.amdhsa_system_sgpr_workgroup_id_z 0
		.amdhsa_system_sgpr_workgroup_info 0
		.amdhsa_system_vgpr_workitem_id 0
		.amdhsa_next_free_vgpr 1
		.amdhsa_next_free_sgpr 1
		.amdhsa_reserve_vcc 0
		.amdhsa_float_round_mode_32 0
		.amdhsa_float_round_mode_16_64 0
		.amdhsa_float_denorm_mode_32 3
		.amdhsa_float_denorm_mode_16_64 3
		.amdhsa_dx10_clamp 1
		.amdhsa_ieee_mode 1
		.amdhsa_fp16_overflow 0
		.amdhsa_workgroup_processor_mode 1
		.amdhsa_memory_ordered 1
		.amdhsa_forward_progress 0
		.amdhsa_shared_vgpr_count 0
		.amdhsa_exception_fp_ieee_invalid_op 0
		.amdhsa_exception_fp_denorm_src 0
		.amdhsa_exception_fp_ieee_div_zero 0
		.amdhsa_exception_fp_ieee_overflow 0
		.amdhsa_exception_fp_ieee_underflow 0
		.amdhsa_exception_fp_ieee_inexact 0
		.amdhsa_exception_int_div_zero 0
	.end_amdhsa_kernel
	.section	.text._ZN9rocsparse29copy_farray_mix_safe_kernel_tI18rocsparse_bfloat16DF16_vE3runILj1024EEEvmPS1_PKDF16_PDF16_,"axG",@progbits,_ZN9rocsparse29copy_farray_mix_safe_kernel_tI18rocsparse_bfloat16DF16_vE3runILj1024EEEvmPS1_PKDF16_PDF16_,comdat
.Lfunc_end62:
	.size	_ZN9rocsparse29copy_farray_mix_safe_kernel_tI18rocsparse_bfloat16DF16_vE3runILj1024EEEvmPS1_PKDF16_PDF16_, .Lfunc_end62-_ZN9rocsparse29copy_farray_mix_safe_kernel_tI18rocsparse_bfloat16DF16_vE3runILj1024EEEvmPS1_PKDF16_PDF16_
                                        ; -- End function
	.section	.AMDGPU.csdata,"",@progbits
; Kernel info:
; codeLenInByte = 4
; NumSgprs: 0
; NumVgprs: 0
; ScratchSize: 0
; MemoryBound: 0
; FloatMode: 240
; IeeeMode: 1
; LDSByteSize: 0 bytes/workgroup (compile time only)
; SGPRBlocks: 0
; VGPRBlocks: 0
; NumSGPRsForWavesPerEU: 1
; NumVGPRsForWavesPerEU: 1
; Occupancy: 16
; WaveLimiterHint : 0
; COMPUTE_PGM_RSRC2:SCRATCH_EN: 0
; COMPUTE_PGM_RSRC2:USER_SGPR: 15
; COMPUTE_PGM_RSRC2:TRAP_HANDLER: 0
; COMPUTE_PGM_RSRC2:TGID_X_EN: 1
; COMPUTE_PGM_RSRC2:TGID_Y_EN: 0
; COMPUTE_PGM_RSRC2:TGID_Z_EN: 0
; COMPUTE_PGM_RSRC2:TIDIG_COMP_CNT: 0
	.section	.text._ZN9rocsparse29copy_farray_mix_safe_kernel_tI18rocsparse_bfloat16S1_vE3runILj1024EEEvmPS1_PKS1_S4_,"axG",@progbits,_ZN9rocsparse29copy_farray_mix_safe_kernel_tI18rocsparse_bfloat16S1_vE3runILj1024EEEvmPS1_PKS1_S4_,comdat
	.protected	_ZN9rocsparse29copy_farray_mix_safe_kernel_tI18rocsparse_bfloat16S1_vE3runILj1024EEEvmPS1_PKS1_S4_ ; -- Begin function _ZN9rocsparse29copy_farray_mix_safe_kernel_tI18rocsparse_bfloat16S1_vE3runILj1024EEEvmPS1_PKS1_S4_
	.globl	_ZN9rocsparse29copy_farray_mix_safe_kernel_tI18rocsparse_bfloat16S1_vE3runILj1024EEEvmPS1_PKS1_S4_
	.p2align	8
	.type	_ZN9rocsparse29copy_farray_mix_safe_kernel_tI18rocsparse_bfloat16S1_vE3runILj1024EEEvmPS1_PKS1_S4_,@function
_ZN9rocsparse29copy_farray_mix_safe_kernel_tI18rocsparse_bfloat16S1_vE3runILj1024EEEvmPS1_PKS1_S4_: ; @_ZN9rocsparse29copy_farray_mix_safe_kernel_tI18rocsparse_bfloat16S1_vE3runILj1024EEEvmPS1_PKS1_S4_
; %bb.0:
	s_load_b128 s[4:7], s[0:1], 0x0
	v_lshl_or_b32 v0, s15, 10, v0
	v_mov_b32_e32 v1, 0
	s_mov_b32 s2, exec_lo
	s_waitcnt lgkmcnt(0)
	s_delay_alu instid0(VALU_DEP_1)
	v_cmpx_gt_u64_e64 s[4:5], v[0:1]
	s_cbranch_execz .LBB63_2
; %bb.1:
	s_load_b64 s[0:1], s[0:1], 0x10
	v_lshlrev_b64 v[0:1], 1, v[0:1]
	s_waitcnt lgkmcnt(0)
	s_delay_alu instid0(VALU_DEP_1) | instskip(NEXT) | instid1(VALU_DEP_2)
	v_add_co_u32 v2, vcc_lo, s0, v0
	v_add_co_ci_u32_e32 v3, vcc_lo, s1, v1, vcc_lo
	v_add_co_u32 v0, vcc_lo, s6, v0
	v_add_co_ci_u32_e32 v1, vcc_lo, s7, v1, vcc_lo
	global_load_u16 v2, v[2:3], off
	s_waitcnt vmcnt(0)
	global_store_b16 v[0:1], v2, off
.LBB63_2:
	s_nop 0
	s_sendmsg sendmsg(MSG_DEALLOC_VGPRS)
	s_endpgm
	.section	.rodata,"a",@progbits
	.p2align	6, 0x0
	.amdhsa_kernel _ZN9rocsparse29copy_farray_mix_safe_kernel_tI18rocsparse_bfloat16S1_vE3runILj1024EEEvmPS1_PKS1_S4_
		.amdhsa_group_segment_fixed_size 0
		.amdhsa_private_segment_fixed_size 0
		.amdhsa_kernarg_size 32
		.amdhsa_user_sgpr_count 15
		.amdhsa_user_sgpr_dispatch_ptr 0
		.amdhsa_user_sgpr_queue_ptr 0
		.amdhsa_user_sgpr_kernarg_segment_ptr 1
		.amdhsa_user_sgpr_dispatch_id 0
		.amdhsa_user_sgpr_private_segment_size 0
		.amdhsa_wavefront_size32 1
		.amdhsa_uses_dynamic_stack 0
		.amdhsa_enable_private_segment 0
		.amdhsa_system_sgpr_workgroup_id_x 1
		.amdhsa_system_sgpr_workgroup_id_y 0
		.amdhsa_system_sgpr_workgroup_id_z 0
		.amdhsa_system_sgpr_workgroup_info 0
		.amdhsa_system_vgpr_workitem_id 0
		.amdhsa_next_free_vgpr 4
		.amdhsa_next_free_sgpr 16
		.amdhsa_reserve_vcc 1
		.amdhsa_float_round_mode_32 0
		.amdhsa_float_round_mode_16_64 0
		.amdhsa_float_denorm_mode_32 3
		.amdhsa_float_denorm_mode_16_64 3
		.amdhsa_dx10_clamp 1
		.amdhsa_ieee_mode 1
		.amdhsa_fp16_overflow 0
		.amdhsa_workgroup_processor_mode 1
		.amdhsa_memory_ordered 1
		.amdhsa_forward_progress 0
		.amdhsa_shared_vgpr_count 0
		.amdhsa_exception_fp_ieee_invalid_op 0
		.amdhsa_exception_fp_denorm_src 0
		.amdhsa_exception_fp_ieee_div_zero 0
		.amdhsa_exception_fp_ieee_overflow 0
		.amdhsa_exception_fp_ieee_underflow 0
		.amdhsa_exception_fp_ieee_inexact 0
		.amdhsa_exception_int_div_zero 0
	.end_amdhsa_kernel
	.section	.text._ZN9rocsparse29copy_farray_mix_safe_kernel_tI18rocsparse_bfloat16S1_vE3runILj1024EEEvmPS1_PKS1_S4_,"axG",@progbits,_ZN9rocsparse29copy_farray_mix_safe_kernel_tI18rocsparse_bfloat16S1_vE3runILj1024EEEvmPS1_PKS1_S4_,comdat
.Lfunc_end63:
	.size	_ZN9rocsparse29copy_farray_mix_safe_kernel_tI18rocsparse_bfloat16S1_vE3runILj1024EEEvmPS1_PKS1_S4_, .Lfunc_end63-_ZN9rocsparse29copy_farray_mix_safe_kernel_tI18rocsparse_bfloat16S1_vE3runILj1024EEEvmPS1_PKS1_S4_
                                        ; -- End function
	.section	.AMDGPU.csdata,"",@progbits
; Kernel info:
; codeLenInByte = 124
; NumSgprs: 18
; NumVgprs: 4
; ScratchSize: 0
; MemoryBound: 0
; FloatMode: 240
; IeeeMode: 1
; LDSByteSize: 0 bytes/workgroup (compile time only)
; SGPRBlocks: 2
; VGPRBlocks: 0
; NumSGPRsForWavesPerEU: 18
; NumVGPRsForWavesPerEU: 4
; Occupancy: 16
; WaveLimiterHint : 0
; COMPUTE_PGM_RSRC2:SCRATCH_EN: 0
; COMPUTE_PGM_RSRC2:USER_SGPR: 15
; COMPUTE_PGM_RSRC2:TRAP_HANDLER: 0
; COMPUTE_PGM_RSRC2:TGID_X_EN: 1
; COMPUTE_PGM_RSRC2:TGID_Y_EN: 0
; COMPUTE_PGM_RSRC2:TGID_Z_EN: 0
; COMPUTE_PGM_RSRC2:TIDIG_COMP_CNT: 0
	.section	.text._ZN9rocsparse29copy_farray_mix_safe_kernel_tI18rocsparse_bfloat16fvE3runILj1024EEEvmPS1_PKfPf,"axG",@progbits,_ZN9rocsparse29copy_farray_mix_safe_kernel_tI18rocsparse_bfloat16fvE3runILj1024EEEvmPS1_PKfPf,comdat
	.protected	_ZN9rocsparse29copy_farray_mix_safe_kernel_tI18rocsparse_bfloat16fvE3runILj1024EEEvmPS1_PKfPf ; -- Begin function _ZN9rocsparse29copy_farray_mix_safe_kernel_tI18rocsparse_bfloat16fvE3runILj1024EEEvmPS1_PKfPf
	.globl	_ZN9rocsparse29copy_farray_mix_safe_kernel_tI18rocsparse_bfloat16fvE3runILj1024EEEvmPS1_PKfPf
	.p2align	8
	.type	_ZN9rocsparse29copy_farray_mix_safe_kernel_tI18rocsparse_bfloat16fvE3runILj1024EEEvmPS1_PKfPf,@function
_ZN9rocsparse29copy_farray_mix_safe_kernel_tI18rocsparse_bfloat16fvE3runILj1024EEEvmPS1_PKfPf: ; @_ZN9rocsparse29copy_farray_mix_safe_kernel_tI18rocsparse_bfloat16fvE3runILj1024EEEvmPS1_PKfPf
; %bb.0:
	s_endpgm
	.section	.rodata,"a",@progbits
	.p2align	6, 0x0
	.amdhsa_kernel _ZN9rocsparse29copy_farray_mix_safe_kernel_tI18rocsparse_bfloat16fvE3runILj1024EEEvmPS1_PKfPf
		.amdhsa_group_segment_fixed_size 0
		.amdhsa_private_segment_fixed_size 0
		.amdhsa_kernarg_size 32
		.amdhsa_user_sgpr_count 15
		.amdhsa_user_sgpr_dispatch_ptr 0
		.amdhsa_user_sgpr_queue_ptr 0
		.amdhsa_user_sgpr_kernarg_segment_ptr 1
		.amdhsa_user_sgpr_dispatch_id 0
		.amdhsa_user_sgpr_private_segment_size 0
		.amdhsa_wavefront_size32 1
		.amdhsa_uses_dynamic_stack 0
		.amdhsa_enable_private_segment 0
		.amdhsa_system_sgpr_workgroup_id_x 1
		.amdhsa_system_sgpr_workgroup_id_y 0
		.amdhsa_system_sgpr_workgroup_id_z 0
		.amdhsa_system_sgpr_workgroup_info 0
		.amdhsa_system_vgpr_workitem_id 0
		.amdhsa_next_free_vgpr 1
		.amdhsa_next_free_sgpr 1
		.amdhsa_reserve_vcc 0
		.amdhsa_float_round_mode_32 0
		.amdhsa_float_round_mode_16_64 0
		.amdhsa_float_denorm_mode_32 3
		.amdhsa_float_denorm_mode_16_64 3
		.amdhsa_dx10_clamp 1
		.amdhsa_ieee_mode 1
		.amdhsa_fp16_overflow 0
		.amdhsa_workgroup_processor_mode 1
		.amdhsa_memory_ordered 1
		.amdhsa_forward_progress 0
		.amdhsa_shared_vgpr_count 0
		.amdhsa_exception_fp_ieee_invalid_op 0
		.amdhsa_exception_fp_denorm_src 0
		.amdhsa_exception_fp_ieee_div_zero 0
		.amdhsa_exception_fp_ieee_overflow 0
		.amdhsa_exception_fp_ieee_underflow 0
		.amdhsa_exception_fp_ieee_inexact 0
		.amdhsa_exception_int_div_zero 0
	.end_amdhsa_kernel
	.section	.text._ZN9rocsparse29copy_farray_mix_safe_kernel_tI18rocsparse_bfloat16fvE3runILj1024EEEvmPS1_PKfPf,"axG",@progbits,_ZN9rocsparse29copy_farray_mix_safe_kernel_tI18rocsparse_bfloat16fvE3runILj1024EEEvmPS1_PKfPf,comdat
.Lfunc_end64:
	.size	_ZN9rocsparse29copy_farray_mix_safe_kernel_tI18rocsparse_bfloat16fvE3runILj1024EEEvmPS1_PKfPf, .Lfunc_end64-_ZN9rocsparse29copy_farray_mix_safe_kernel_tI18rocsparse_bfloat16fvE3runILj1024EEEvmPS1_PKfPf
                                        ; -- End function
	.section	.AMDGPU.csdata,"",@progbits
; Kernel info:
; codeLenInByte = 4
; NumSgprs: 0
; NumVgprs: 0
; ScratchSize: 0
; MemoryBound: 0
; FloatMode: 240
; IeeeMode: 1
; LDSByteSize: 0 bytes/workgroup (compile time only)
; SGPRBlocks: 0
; VGPRBlocks: 0
; NumSGPRsForWavesPerEU: 1
; NumVGPRsForWavesPerEU: 1
; Occupancy: 16
; WaveLimiterHint : 0
; COMPUTE_PGM_RSRC2:SCRATCH_EN: 0
; COMPUTE_PGM_RSRC2:USER_SGPR: 15
; COMPUTE_PGM_RSRC2:TRAP_HANDLER: 0
; COMPUTE_PGM_RSRC2:TGID_X_EN: 1
; COMPUTE_PGM_RSRC2:TGID_Y_EN: 0
; COMPUTE_PGM_RSRC2:TGID_Z_EN: 0
; COMPUTE_PGM_RSRC2:TIDIG_COMP_CNT: 0
	.section	.text._ZN9rocsparse29copy_farray_mix_safe_kernel_tI18rocsparse_bfloat16dvE3runILj1024EEEvmPS1_PKdPd,"axG",@progbits,_ZN9rocsparse29copy_farray_mix_safe_kernel_tI18rocsparse_bfloat16dvE3runILj1024EEEvmPS1_PKdPd,comdat
	.protected	_ZN9rocsparse29copy_farray_mix_safe_kernel_tI18rocsparse_bfloat16dvE3runILj1024EEEvmPS1_PKdPd ; -- Begin function _ZN9rocsparse29copy_farray_mix_safe_kernel_tI18rocsparse_bfloat16dvE3runILj1024EEEvmPS1_PKdPd
	.globl	_ZN9rocsparse29copy_farray_mix_safe_kernel_tI18rocsparse_bfloat16dvE3runILj1024EEEvmPS1_PKdPd
	.p2align	8
	.type	_ZN9rocsparse29copy_farray_mix_safe_kernel_tI18rocsparse_bfloat16dvE3runILj1024EEEvmPS1_PKdPd,@function
_ZN9rocsparse29copy_farray_mix_safe_kernel_tI18rocsparse_bfloat16dvE3runILj1024EEEvmPS1_PKdPd: ; @_ZN9rocsparse29copy_farray_mix_safe_kernel_tI18rocsparse_bfloat16dvE3runILj1024EEEvmPS1_PKdPd
; %bb.0:
	s_endpgm
	.section	.rodata,"a",@progbits
	.p2align	6, 0x0
	.amdhsa_kernel _ZN9rocsparse29copy_farray_mix_safe_kernel_tI18rocsparse_bfloat16dvE3runILj1024EEEvmPS1_PKdPd
		.amdhsa_group_segment_fixed_size 0
		.amdhsa_private_segment_fixed_size 0
		.amdhsa_kernarg_size 32
		.amdhsa_user_sgpr_count 15
		.amdhsa_user_sgpr_dispatch_ptr 0
		.amdhsa_user_sgpr_queue_ptr 0
		.amdhsa_user_sgpr_kernarg_segment_ptr 1
		.amdhsa_user_sgpr_dispatch_id 0
		.amdhsa_user_sgpr_private_segment_size 0
		.amdhsa_wavefront_size32 1
		.amdhsa_uses_dynamic_stack 0
		.amdhsa_enable_private_segment 0
		.amdhsa_system_sgpr_workgroup_id_x 1
		.amdhsa_system_sgpr_workgroup_id_y 0
		.amdhsa_system_sgpr_workgroup_id_z 0
		.amdhsa_system_sgpr_workgroup_info 0
		.amdhsa_system_vgpr_workitem_id 0
		.amdhsa_next_free_vgpr 1
		.amdhsa_next_free_sgpr 1
		.amdhsa_reserve_vcc 0
		.amdhsa_float_round_mode_32 0
		.amdhsa_float_round_mode_16_64 0
		.amdhsa_float_denorm_mode_32 3
		.amdhsa_float_denorm_mode_16_64 3
		.amdhsa_dx10_clamp 1
		.amdhsa_ieee_mode 1
		.amdhsa_fp16_overflow 0
		.amdhsa_workgroup_processor_mode 1
		.amdhsa_memory_ordered 1
		.amdhsa_forward_progress 0
		.amdhsa_shared_vgpr_count 0
		.amdhsa_exception_fp_ieee_invalid_op 0
		.amdhsa_exception_fp_denorm_src 0
		.amdhsa_exception_fp_ieee_div_zero 0
		.amdhsa_exception_fp_ieee_overflow 0
		.amdhsa_exception_fp_ieee_underflow 0
		.amdhsa_exception_fp_ieee_inexact 0
		.amdhsa_exception_int_div_zero 0
	.end_amdhsa_kernel
	.section	.text._ZN9rocsparse29copy_farray_mix_safe_kernel_tI18rocsparse_bfloat16dvE3runILj1024EEEvmPS1_PKdPd,"axG",@progbits,_ZN9rocsparse29copy_farray_mix_safe_kernel_tI18rocsparse_bfloat16dvE3runILj1024EEEvmPS1_PKdPd,comdat
.Lfunc_end65:
	.size	_ZN9rocsparse29copy_farray_mix_safe_kernel_tI18rocsparse_bfloat16dvE3runILj1024EEEvmPS1_PKdPd, .Lfunc_end65-_ZN9rocsparse29copy_farray_mix_safe_kernel_tI18rocsparse_bfloat16dvE3runILj1024EEEvmPS1_PKdPd
                                        ; -- End function
	.section	.AMDGPU.csdata,"",@progbits
; Kernel info:
; codeLenInByte = 4
; NumSgprs: 0
; NumVgprs: 0
; ScratchSize: 0
; MemoryBound: 0
; FloatMode: 240
; IeeeMode: 1
; LDSByteSize: 0 bytes/workgroup (compile time only)
; SGPRBlocks: 0
; VGPRBlocks: 0
; NumSGPRsForWavesPerEU: 1
; NumVGPRsForWavesPerEU: 1
; Occupancy: 16
; WaveLimiterHint : 0
; COMPUTE_PGM_RSRC2:SCRATCH_EN: 0
; COMPUTE_PGM_RSRC2:USER_SGPR: 15
; COMPUTE_PGM_RSRC2:TRAP_HANDLER: 0
; COMPUTE_PGM_RSRC2:TGID_X_EN: 1
; COMPUTE_PGM_RSRC2:TGID_Y_EN: 0
; COMPUTE_PGM_RSRC2:TGID_Z_EN: 0
; COMPUTE_PGM_RSRC2:TIDIG_COMP_CNT: 0
	.section	.text._ZN9rocsparse29copy_farray_mix_safe_kernel_tI18rocsparse_bfloat1621rocsparse_complex_numIfEvE3runILj1024EEEvmPS1_PKS3_Pf,"axG",@progbits,_ZN9rocsparse29copy_farray_mix_safe_kernel_tI18rocsparse_bfloat1621rocsparse_complex_numIfEvE3runILj1024EEEvmPS1_PKS3_Pf,comdat
	.protected	_ZN9rocsparse29copy_farray_mix_safe_kernel_tI18rocsparse_bfloat1621rocsparse_complex_numIfEvE3runILj1024EEEvmPS1_PKS3_Pf ; -- Begin function _ZN9rocsparse29copy_farray_mix_safe_kernel_tI18rocsparse_bfloat1621rocsparse_complex_numIfEvE3runILj1024EEEvmPS1_PKS3_Pf
	.globl	_ZN9rocsparse29copy_farray_mix_safe_kernel_tI18rocsparse_bfloat1621rocsparse_complex_numIfEvE3runILj1024EEEvmPS1_PKS3_Pf
	.p2align	8
	.type	_ZN9rocsparse29copy_farray_mix_safe_kernel_tI18rocsparse_bfloat1621rocsparse_complex_numIfEvE3runILj1024EEEvmPS1_PKS3_Pf,@function
_ZN9rocsparse29copy_farray_mix_safe_kernel_tI18rocsparse_bfloat1621rocsparse_complex_numIfEvE3runILj1024EEEvmPS1_PKS3_Pf: ; @_ZN9rocsparse29copy_farray_mix_safe_kernel_tI18rocsparse_bfloat1621rocsparse_complex_numIfEvE3runILj1024EEEvmPS1_PKS3_Pf
; %bb.0:
	s_endpgm
	.section	.rodata,"a",@progbits
	.p2align	6, 0x0
	.amdhsa_kernel _ZN9rocsparse29copy_farray_mix_safe_kernel_tI18rocsparse_bfloat1621rocsparse_complex_numIfEvE3runILj1024EEEvmPS1_PKS3_Pf
		.amdhsa_group_segment_fixed_size 0
		.amdhsa_private_segment_fixed_size 0
		.amdhsa_kernarg_size 32
		.amdhsa_user_sgpr_count 15
		.amdhsa_user_sgpr_dispatch_ptr 0
		.amdhsa_user_sgpr_queue_ptr 0
		.amdhsa_user_sgpr_kernarg_segment_ptr 1
		.amdhsa_user_sgpr_dispatch_id 0
		.amdhsa_user_sgpr_private_segment_size 0
		.amdhsa_wavefront_size32 1
		.amdhsa_uses_dynamic_stack 0
		.amdhsa_enable_private_segment 0
		.amdhsa_system_sgpr_workgroup_id_x 1
		.amdhsa_system_sgpr_workgroup_id_y 0
		.amdhsa_system_sgpr_workgroup_id_z 0
		.amdhsa_system_sgpr_workgroup_info 0
		.amdhsa_system_vgpr_workitem_id 0
		.amdhsa_next_free_vgpr 1
		.amdhsa_next_free_sgpr 1
		.amdhsa_reserve_vcc 0
		.amdhsa_float_round_mode_32 0
		.amdhsa_float_round_mode_16_64 0
		.amdhsa_float_denorm_mode_32 3
		.amdhsa_float_denorm_mode_16_64 3
		.amdhsa_dx10_clamp 1
		.amdhsa_ieee_mode 1
		.amdhsa_fp16_overflow 0
		.amdhsa_workgroup_processor_mode 1
		.amdhsa_memory_ordered 1
		.amdhsa_forward_progress 0
		.amdhsa_shared_vgpr_count 0
		.amdhsa_exception_fp_ieee_invalid_op 0
		.amdhsa_exception_fp_denorm_src 0
		.amdhsa_exception_fp_ieee_div_zero 0
		.amdhsa_exception_fp_ieee_overflow 0
		.amdhsa_exception_fp_ieee_underflow 0
		.amdhsa_exception_fp_ieee_inexact 0
		.amdhsa_exception_int_div_zero 0
	.end_amdhsa_kernel
	.section	.text._ZN9rocsparse29copy_farray_mix_safe_kernel_tI18rocsparse_bfloat1621rocsparse_complex_numIfEvE3runILj1024EEEvmPS1_PKS3_Pf,"axG",@progbits,_ZN9rocsparse29copy_farray_mix_safe_kernel_tI18rocsparse_bfloat1621rocsparse_complex_numIfEvE3runILj1024EEEvmPS1_PKS3_Pf,comdat
.Lfunc_end66:
	.size	_ZN9rocsparse29copy_farray_mix_safe_kernel_tI18rocsparse_bfloat1621rocsparse_complex_numIfEvE3runILj1024EEEvmPS1_PKS3_Pf, .Lfunc_end66-_ZN9rocsparse29copy_farray_mix_safe_kernel_tI18rocsparse_bfloat1621rocsparse_complex_numIfEvE3runILj1024EEEvmPS1_PKS3_Pf
                                        ; -- End function
	.section	.AMDGPU.csdata,"",@progbits
; Kernel info:
; codeLenInByte = 4
; NumSgprs: 0
; NumVgprs: 0
; ScratchSize: 0
; MemoryBound: 0
; FloatMode: 240
; IeeeMode: 1
; LDSByteSize: 0 bytes/workgroup (compile time only)
; SGPRBlocks: 0
; VGPRBlocks: 0
; NumSGPRsForWavesPerEU: 1
; NumVGPRsForWavesPerEU: 1
; Occupancy: 16
; WaveLimiterHint : 0
; COMPUTE_PGM_RSRC2:SCRATCH_EN: 0
; COMPUTE_PGM_RSRC2:USER_SGPR: 15
; COMPUTE_PGM_RSRC2:TRAP_HANDLER: 0
; COMPUTE_PGM_RSRC2:TGID_X_EN: 1
; COMPUTE_PGM_RSRC2:TGID_Y_EN: 0
; COMPUTE_PGM_RSRC2:TGID_Z_EN: 0
; COMPUTE_PGM_RSRC2:TIDIG_COMP_CNT: 0
	.section	.text._ZN9rocsparse29copy_farray_mix_safe_kernel_tI18rocsparse_bfloat1621rocsparse_complex_numIdEvE3runILj1024EEEvmPS1_PKS3_Pd,"axG",@progbits,_ZN9rocsparse29copy_farray_mix_safe_kernel_tI18rocsparse_bfloat1621rocsparse_complex_numIdEvE3runILj1024EEEvmPS1_PKS3_Pd,comdat
	.protected	_ZN9rocsparse29copy_farray_mix_safe_kernel_tI18rocsparse_bfloat1621rocsparse_complex_numIdEvE3runILj1024EEEvmPS1_PKS3_Pd ; -- Begin function _ZN9rocsparse29copy_farray_mix_safe_kernel_tI18rocsparse_bfloat1621rocsparse_complex_numIdEvE3runILj1024EEEvmPS1_PKS3_Pd
	.globl	_ZN9rocsparse29copy_farray_mix_safe_kernel_tI18rocsparse_bfloat1621rocsparse_complex_numIdEvE3runILj1024EEEvmPS1_PKS3_Pd
	.p2align	8
	.type	_ZN9rocsparse29copy_farray_mix_safe_kernel_tI18rocsparse_bfloat1621rocsparse_complex_numIdEvE3runILj1024EEEvmPS1_PKS3_Pd,@function
_ZN9rocsparse29copy_farray_mix_safe_kernel_tI18rocsparse_bfloat1621rocsparse_complex_numIdEvE3runILj1024EEEvmPS1_PKS3_Pd: ; @_ZN9rocsparse29copy_farray_mix_safe_kernel_tI18rocsparse_bfloat1621rocsparse_complex_numIdEvE3runILj1024EEEvmPS1_PKS3_Pd
; %bb.0:
	s_endpgm
	.section	.rodata,"a",@progbits
	.p2align	6, 0x0
	.amdhsa_kernel _ZN9rocsparse29copy_farray_mix_safe_kernel_tI18rocsparse_bfloat1621rocsparse_complex_numIdEvE3runILj1024EEEvmPS1_PKS3_Pd
		.amdhsa_group_segment_fixed_size 0
		.amdhsa_private_segment_fixed_size 0
		.amdhsa_kernarg_size 32
		.amdhsa_user_sgpr_count 15
		.amdhsa_user_sgpr_dispatch_ptr 0
		.amdhsa_user_sgpr_queue_ptr 0
		.amdhsa_user_sgpr_kernarg_segment_ptr 1
		.amdhsa_user_sgpr_dispatch_id 0
		.amdhsa_user_sgpr_private_segment_size 0
		.amdhsa_wavefront_size32 1
		.amdhsa_uses_dynamic_stack 0
		.amdhsa_enable_private_segment 0
		.amdhsa_system_sgpr_workgroup_id_x 1
		.amdhsa_system_sgpr_workgroup_id_y 0
		.amdhsa_system_sgpr_workgroup_id_z 0
		.amdhsa_system_sgpr_workgroup_info 0
		.amdhsa_system_vgpr_workitem_id 0
		.amdhsa_next_free_vgpr 1
		.amdhsa_next_free_sgpr 1
		.amdhsa_reserve_vcc 0
		.amdhsa_float_round_mode_32 0
		.amdhsa_float_round_mode_16_64 0
		.amdhsa_float_denorm_mode_32 3
		.amdhsa_float_denorm_mode_16_64 3
		.amdhsa_dx10_clamp 1
		.amdhsa_ieee_mode 1
		.amdhsa_fp16_overflow 0
		.amdhsa_workgroup_processor_mode 1
		.amdhsa_memory_ordered 1
		.amdhsa_forward_progress 0
		.amdhsa_shared_vgpr_count 0
		.amdhsa_exception_fp_ieee_invalid_op 0
		.amdhsa_exception_fp_denorm_src 0
		.amdhsa_exception_fp_ieee_div_zero 0
		.amdhsa_exception_fp_ieee_overflow 0
		.amdhsa_exception_fp_ieee_underflow 0
		.amdhsa_exception_fp_ieee_inexact 0
		.amdhsa_exception_int_div_zero 0
	.end_amdhsa_kernel
	.section	.text._ZN9rocsparse29copy_farray_mix_safe_kernel_tI18rocsparse_bfloat1621rocsparse_complex_numIdEvE3runILj1024EEEvmPS1_PKS3_Pd,"axG",@progbits,_ZN9rocsparse29copy_farray_mix_safe_kernel_tI18rocsparse_bfloat1621rocsparse_complex_numIdEvE3runILj1024EEEvmPS1_PKS3_Pd,comdat
.Lfunc_end67:
	.size	_ZN9rocsparse29copy_farray_mix_safe_kernel_tI18rocsparse_bfloat1621rocsparse_complex_numIdEvE3runILj1024EEEvmPS1_PKS3_Pd, .Lfunc_end67-_ZN9rocsparse29copy_farray_mix_safe_kernel_tI18rocsparse_bfloat1621rocsparse_complex_numIdEvE3runILj1024EEEvmPS1_PKS3_Pd
                                        ; -- End function
	.section	.AMDGPU.csdata,"",@progbits
; Kernel info:
; codeLenInByte = 4
; NumSgprs: 0
; NumVgprs: 0
; ScratchSize: 0
; MemoryBound: 0
; FloatMode: 240
; IeeeMode: 1
; LDSByteSize: 0 bytes/workgroup (compile time only)
; SGPRBlocks: 0
; VGPRBlocks: 0
; NumSGPRsForWavesPerEU: 1
; NumVGPRsForWavesPerEU: 1
; Occupancy: 16
; WaveLimiterHint : 0
; COMPUTE_PGM_RSRC2:SCRATCH_EN: 0
; COMPUTE_PGM_RSRC2:USER_SGPR: 15
; COMPUTE_PGM_RSRC2:TRAP_HANDLER: 0
; COMPUTE_PGM_RSRC2:TGID_X_EN: 1
; COMPUTE_PGM_RSRC2:TGID_Y_EN: 0
; COMPUTE_PGM_RSRC2:TGID_Z_EN: 0
; COMPUTE_PGM_RSRC2:TIDIG_COMP_CNT: 0
	.section	.text._ZN9rocsparse29copy_farray_mix_safe_kernel_tIfavE3runILj1024EEEvmPfPKaPa,"axG",@progbits,_ZN9rocsparse29copy_farray_mix_safe_kernel_tIfavE3runILj1024EEEvmPfPKaPa,comdat
	.protected	_ZN9rocsparse29copy_farray_mix_safe_kernel_tIfavE3runILj1024EEEvmPfPKaPa ; -- Begin function _ZN9rocsparse29copy_farray_mix_safe_kernel_tIfavE3runILj1024EEEvmPfPKaPa
	.globl	_ZN9rocsparse29copy_farray_mix_safe_kernel_tIfavE3runILj1024EEEvmPfPKaPa
	.p2align	8
	.type	_ZN9rocsparse29copy_farray_mix_safe_kernel_tIfavE3runILj1024EEEvmPfPKaPa,@function
_ZN9rocsparse29copy_farray_mix_safe_kernel_tIfavE3runILj1024EEEvmPfPKaPa: ; @_ZN9rocsparse29copy_farray_mix_safe_kernel_tIfavE3runILj1024EEEvmPfPKaPa
; %bb.0:
	s_endpgm
	.section	.rodata,"a",@progbits
	.p2align	6, 0x0
	.amdhsa_kernel _ZN9rocsparse29copy_farray_mix_safe_kernel_tIfavE3runILj1024EEEvmPfPKaPa
		.amdhsa_group_segment_fixed_size 0
		.amdhsa_private_segment_fixed_size 0
		.amdhsa_kernarg_size 32
		.amdhsa_user_sgpr_count 15
		.amdhsa_user_sgpr_dispatch_ptr 0
		.amdhsa_user_sgpr_queue_ptr 0
		.amdhsa_user_sgpr_kernarg_segment_ptr 1
		.amdhsa_user_sgpr_dispatch_id 0
		.amdhsa_user_sgpr_private_segment_size 0
		.amdhsa_wavefront_size32 1
		.amdhsa_uses_dynamic_stack 0
		.amdhsa_enable_private_segment 0
		.amdhsa_system_sgpr_workgroup_id_x 1
		.amdhsa_system_sgpr_workgroup_id_y 0
		.amdhsa_system_sgpr_workgroup_id_z 0
		.amdhsa_system_sgpr_workgroup_info 0
		.amdhsa_system_vgpr_workitem_id 0
		.amdhsa_next_free_vgpr 1
		.amdhsa_next_free_sgpr 1
		.amdhsa_reserve_vcc 0
		.amdhsa_float_round_mode_32 0
		.amdhsa_float_round_mode_16_64 0
		.amdhsa_float_denorm_mode_32 3
		.amdhsa_float_denorm_mode_16_64 3
		.amdhsa_dx10_clamp 1
		.amdhsa_ieee_mode 1
		.amdhsa_fp16_overflow 0
		.amdhsa_workgroup_processor_mode 1
		.amdhsa_memory_ordered 1
		.amdhsa_forward_progress 0
		.amdhsa_shared_vgpr_count 0
		.amdhsa_exception_fp_ieee_invalid_op 0
		.amdhsa_exception_fp_denorm_src 0
		.amdhsa_exception_fp_ieee_div_zero 0
		.amdhsa_exception_fp_ieee_overflow 0
		.amdhsa_exception_fp_ieee_underflow 0
		.amdhsa_exception_fp_ieee_inexact 0
		.amdhsa_exception_int_div_zero 0
	.end_amdhsa_kernel
	.section	.text._ZN9rocsparse29copy_farray_mix_safe_kernel_tIfavE3runILj1024EEEvmPfPKaPa,"axG",@progbits,_ZN9rocsparse29copy_farray_mix_safe_kernel_tIfavE3runILj1024EEEvmPfPKaPa,comdat
.Lfunc_end68:
	.size	_ZN9rocsparse29copy_farray_mix_safe_kernel_tIfavE3runILj1024EEEvmPfPKaPa, .Lfunc_end68-_ZN9rocsparse29copy_farray_mix_safe_kernel_tIfavE3runILj1024EEEvmPfPKaPa
                                        ; -- End function
	.section	.AMDGPU.csdata,"",@progbits
; Kernel info:
; codeLenInByte = 4
; NumSgprs: 0
; NumVgprs: 0
; ScratchSize: 0
; MemoryBound: 0
; FloatMode: 240
; IeeeMode: 1
; LDSByteSize: 0 bytes/workgroup (compile time only)
; SGPRBlocks: 0
; VGPRBlocks: 0
; NumSGPRsForWavesPerEU: 1
; NumVGPRsForWavesPerEU: 1
; Occupancy: 16
; WaveLimiterHint : 0
; COMPUTE_PGM_RSRC2:SCRATCH_EN: 0
; COMPUTE_PGM_RSRC2:USER_SGPR: 15
; COMPUTE_PGM_RSRC2:TRAP_HANDLER: 0
; COMPUTE_PGM_RSRC2:TGID_X_EN: 1
; COMPUTE_PGM_RSRC2:TGID_Y_EN: 0
; COMPUTE_PGM_RSRC2:TGID_Z_EN: 0
; COMPUTE_PGM_RSRC2:TIDIG_COMP_CNT: 0
	.section	.text._ZN9rocsparse29copy_farray_mix_safe_kernel_tIfhvE3runILj1024EEEvmPfPKhPh,"axG",@progbits,_ZN9rocsparse29copy_farray_mix_safe_kernel_tIfhvE3runILj1024EEEvmPfPKhPh,comdat
	.protected	_ZN9rocsparse29copy_farray_mix_safe_kernel_tIfhvE3runILj1024EEEvmPfPKhPh ; -- Begin function _ZN9rocsparse29copy_farray_mix_safe_kernel_tIfhvE3runILj1024EEEvmPfPKhPh
	.globl	_ZN9rocsparse29copy_farray_mix_safe_kernel_tIfhvE3runILj1024EEEvmPfPKhPh
	.p2align	8
	.type	_ZN9rocsparse29copy_farray_mix_safe_kernel_tIfhvE3runILj1024EEEvmPfPKhPh,@function
_ZN9rocsparse29copy_farray_mix_safe_kernel_tIfhvE3runILj1024EEEvmPfPKhPh: ; @_ZN9rocsparse29copy_farray_mix_safe_kernel_tIfhvE3runILj1024EEEvmPfPKhPh
; %bb.0:
	s_endpgm
	.section	.rodata,"a",@progbits
	.p2align	6, 0x0
	.amdhsa_kernel _ZN9rocsparse29copy_farray_mix_safe_kernel_tIfhvE3runILj1024EEEvmPfPKhPh
		.amdhsa_group_segment_fixed_size 0
		.amdhsa_private_segment_fixed_size 0
		.amdhsa_kernarg_size 32
		.amdhsa_user_sgpr_count 15
		.amdhsa_user_sgpr_dispatch_ptr 0
		.amdhsa_user_sgpr_queue_ptr 0
		.amdhsa_user_sgpr_kernarg_segment_ptr 1
		.amdhsa_user_sgpr_dispatch_id 0
		.amdhsa_user_sgpr_private_segment_size 0
		.amdhsa_wavefront_size32 1
		.amdhsa_uses_dynamic_stack 0
		.amdhsa_enable_private_segment 0
		.amdhsa_system_sgpr_workgroup_id_x 1
		.amdhsa_system_sgpr_workgroup_id_y 0
		.amdhsa_system_sgpr_workgroup_id_z 0
		.amdhsa_system_sgpr_workgroup_info 0
		.amdhsa_system_vgpr_workitem_id 0
		.amdhsa_next_free_vgpr 1
		.amdhsa_next_free_sgpr 1
		.amdhsa_reserve_vcc 0
		.amdhsa_float_round_mode_32 0
		.amdhsa_float_round_mode_16_64 0
		.amdhsa_float_denorm_mode_32 3
		.amdhsa_float_denorm_mode_16_64 3
		.amdhsa_dx10_clamp 1
		.amdhsa_ieee_mode 1
		.amdhsa_fp16_overflow 0
		.amdhsa_workgroup_processor_mode 1
		.amdhsa_memory_ordered 1
		.amdhsa_forward_progress 0
		.amdhsa_shared_vgpr_count 0
		.amdhsa_exception_fp_ieee_invalid_op 0
		.amdhsa_exception_fp_denorm_src 0
		.amdhsa_exception_fp_ieee_div_zero 0
		.amdhsa_exception_fp_ieee_overflow 0
		.amdhsa_exception_fp_ieee_underflow 0
		.amdhsa_exception_fp_ieee_inexact 0
		.amdhsa_exception_int_div_zero 0
	.end_amdhsa_kernel
	.section	.text._ZN9rocsparse29copy_farray_mix_safe_kernel_tIfhvE3runILj1024EEEvmPfPKhPh,"axG",@progbits,_ZN9rocsparse29copy_farray_mix_safe_kernel_tIfhvE3runILj1024EEEvmPfPKhPh,comdat
.Lfunc_end69:
	.size	_ZN9rocsparse29copy_farray_mix_safe_kernel_tIfhvE3runILj1024EEEvmPfPKhPh, .Lfunc_end69-_ZN9rocsparse29copy_farray_mix_safe_kernel_tIfhvE3runILj1024EEEvmPfPKhPh
                                        ; -- End function
	.section	.AMDGPU.csdata,"",@progbits
; Kernel info:
; codeLenInByte = 4
; NumSgprs: 0
; NumVgprs: 0
; ScratchSize: 0
; MemoryBound: 0
; FloatMode: 240
; IeeeMode: 1
; LDSByteSize: 0 bytes/workgroup (compile time only)
; SGPRBlocks: 0
; VGPRBlocks: 0
; NumSGPRsForWavesPerEU: 1
; NumVGPRsForWavesPerEU: 1
; Occupancy: 16
; WaveLimiterHint : 0
; COMPUTE_PGM_RSRC2:SCRATCH_EN: 0
; COMPUTE_PGM_RSRC2:USER_SGPR: 15
; COMPUTE_PGM_RSRC2:TRAP_HANDLER: 0
; COMPUTE_PGM_RSRC2:TGID_X_EN: 1
; COMPUTE_PGM_RSRC2:TGID_Y_EN: 0
; COMPUTE_PGM_RSRC2:TGID_Z_EN: 0
; COMPUTE_PGM_RSRC2:TIDIG_COMP_CNT: 0
	.section	.text._ZN9rocsparse29copy_farray_mix_safe_kernel_tIfivE3runILj1024EEEvmPfPKiPi,"axG",@progbits,_ZN9rocsparse29copy_farray_mix_safe_kernel_tIfivE3runILj1024EEEvmPfPKiPi,comdat
	.protected	_ZN9rocsparse29copy_farray_mix_safe_kernel_tIfivE3runILj1024EEEvmPfPKiPi ; -- Begin function _ZN9rocsparse29copy_farray_mix_safe_kernel_tIfivE3runILj1024EEEvmPfPKiPi
	.globl	_ZN9rocsparse29copy_farray_mix_safe_kernel_tIfivE3runILj1024EEEvmPfPKiPi
	.p2align	8
	.type	_ZN9rocsparse29copy_farray_mix_safe_kernel_tIfivE3runILj1024EEEvmPfPKiPi,@function
_ZN9rocsparse29copy_farray_mix_safe_kernel_tIfivE3runILj1024EEEvmPfPKiPi: ; @_ZN9rocsparse29copy_farray_mix_safe_kernel_tIfivE3runILj1024EEEvmPfPKiPi
; %bb.0:
	s_endpgm
	.section	.rodata,"a",@progbits
	.p2align	6, 0x0
	.amdhsa_kernel _ZN9rocsparse29copy_farray_mix_safe_kernel_tIfivE3runILj1024EEEvmPfPKiPi
		.amdhsa_group_segment_fixed_size 0
		.amdhsa_private_segment_fixed_size 0
		.amdhsa_kernarg_size 32
		.amdhsa_user_sgpr_count 15
		.amdhsa_user_sgpr_dispatch_ptr 0
		.amdhsa_user_sgpr_queue_ptr 0
		.amdhsa_user_sgpr_kernarg_segment_ptr 1
		.amdhsa_user_sgpr_dispatch_id 0
		.amdhsa_user_sgpr_private_segment_size 0
		.amdhsa_wavefront_size32 1
		.amdhsa_uses_dynamic_stack 0
		.amdhsa_enable_private_segment 0
		.amdhsa_system_sgpr_workgroup_id_x 1
		.amdhsa_system_sgpr_workgroup_id_y 0
		.amdhsa_system_sgpr_workgroup_id_z 0
		.amdhsa_system_sgpr_workgroup_info 0
		.amdhsa_system_vgpr_workitem_id 0
		.amdhsa_next_free_vgpr 1
		.amdhsa_next_free_sgpr 1
		.amdhsa_reserve_vcc 0
		.amdhsa_float_round_mode_32 0
		.amdhsa_float_round_mode_16_64 0
		.amdhsa_float_denorm_mode_32 3
		.amdhsa_float_denorm_mode_16_64 3
		.amdhsa_dx10_clamp 1
		.amdhsa_ieee_mode 1
		.amdhsa_fp16_overflow 0
		.amdhsa_workgroup_processor_mode 1
		.amdhsa_memory_ordered 1
		.amdhsa_forward_progress 0
		.amdhsa_shared_vgpr_count 0
		.amdhsa_exception_fp_ieee_invalid_op 0
		.amdhsa_exception_fp_denorm_src 0
		.amdhsa_exception_fp_ieee_div_zero 0
		.amdhsa_exception_fp_ieee_overflow 0
		.amdhsa_exception_fp_ieee_underflow 0
		.amdhsa_exception_fp_ieee_inexact 0
		.amdhsa_exception_int_div_zero 0
	.end_amdhsa_kernel
	.section	.text._ZN9rocsparse29copy_farray_mix_safe_kernel_tIfivE3runILj1024EEEvmPfPKiPi,"axG",@progbits,_ZN9rocsparse29copy_farray_mix_safe_kernel_tIfivE3runILj1024EEEvmPfPKiPi,comdat
.Lfunc_end70:
	.size	_ZN9rocsparse29copy_farray_mix_safe_kernel_tIfivE3runILj1024EEEvmPfPKiPi, .Lfunc_end70-_ZN9rocsparse29copy_farray_mix_safe_kernel_tIfivE3runILj1024EEEvmPfPKiPi
                                        ; -- End function
	.section	.AMDGPU.csdata,"",@progbits
; Kernel info:
; codeLenInByte = 4
; NumSgprs: 0
; NumVgprs: 0
; ScratchSize: 0
; MemoryBound: 0
; FloatMode: 240
; IeeeMode: 1
; LDSByteSize: 0 bytes/workgroup (compile time only)
; SGPRBlocks: 0
; VGPRBlocks: 0
; NumSGPRsForWavesPerEU: 1
; NumVGPRsForWavesPerEU: 1
; Occupancy: 16
; WaveLimiterHint : 0
; COMPUTE_PGM_RSRC2:SCRATCH_EN: 0
; COMPUTE_PGM_RSRC2:USER_SGPR: 15
; COMPUTE_PGM_RSRC2:TRAP_HANDLER: 0
; COMPUTE_PGM_RSRC2:TGID_X_EN: 1
; COMPUTE_PGM_RSRC2:TGID_Y_EN: 0
; COMPUTE_PGM_RSRC2:TGID_Z_EN: 0
; COMPUTE_PGM_RSRC2:TIDIG_COMP_CNT: 0
	.section	.text._ZN9rocsparse29copy_farray_mix_safe_kernel_tIfjvE3runILj1024EEEvmPfPKjPj,"axG",@progbits,_ZN9rocsparse29copy_farray_mix_safe_kernel_tIfjvE3runILj1024EEEvmPfPKjPj,comdat
	.protected	_ZN9rocsparse29copy_farray_mix_safe_kernel_tIfjvE3runILj1024EEEvmPfPKjPj ; -- Begin function _ZN9rocsparse29copy_farray_mix_safe_kernel_tIfjvE3runILj1024EEEvmPfPKjPj
	.globl	_ZN9rocsparse29copy_farray_mix_safe_kernel_tIfjvE3runILj1024EEEvmPfPKjPj
	.p2align	8
	.type	_ZN9rocsparse29copy_farray_mix_safe_kernel_tIfjvE3runILj1024EEEvmPfPKjPj,@function
_ZN9rocsparse29copy_farray_mix_safe_kernel_tIfjvE3runILj1024EEEvmPfPKjPj: ; @_ZN9rocsparse29copy_farray_mix_safe_kernel_tIfjvE3runILj1024EEEvmPfPKjPj
; %bb.0:
	s_endpgm
	.section	.rodata,"a",@progbits
	.p2align	6, 0x0
	.amdhsa_kernel _ZN9rocsparse29copy_farray_mix_safe_kernel_tIfjvE3runILj1024EEEvmPfPKjPj
		.amdhsa_group_segment_fixed_size 0
		.amdhsa_private_segment_fixed_size 0
		.amdhsa_kernarg_size 32
		.amdhsa_user_sgpr_count 15
		.amdhsa_user_sgpr_dispatch_ptr 0
		.amdhsa_user_sgpr_queue_ptr 0
		.amdhsa_user_sgpr_kernarg_segment_ptr 1
		.amdhsa_user_sgpr_dispatch_id 0
		.amdhsa_user_sgpr_private_segment_size 0
		.amdhsa_wavefront_size32 1
		.amdhsa_uses_dynamic_stack 0
		.amdhsa_enable_private_segment 0
		.amdhsa_system_sgpr_workgroup_id_x 1
		.amdhsa_system_sgpr_workgroup_id_y 0
		.amdhsa_system_sgpr_workgroup_id_z 0
		.amdhsa_system_sgpr_workgroup_info 0
		.amdhsa_system_vgpr_workitem_id 0
		.amdhsa_next_free_vgpr 1
		.amdhsa_next_free_sgpr 1
		.amdhsa_reserve_vcc 0
		.amdhsa_float_round_mode_32 0
		.amdhsa_float_round_mode_16_64 0
		.amdhsa_float_denorm_mode_32 3
		.amdhsa_float_denorm_mode_16_64 3
		.amdhsa_dx10_clamp 1
		.amdhsa_ieee_mode 1
		.amdhsa_fp16_overflow 0
		.amdhsa_workgroup_processor_mode 1
		.amdhsa_memory_ordered 1
		.amdhsa_forward_progress 0
		.amdhsa_shared_vgpr_count 0
		.amdhsa_exception_fp_ieee_invalid_op 0
		.amdhsa_exception_fp_denorm_src 0
		.amdhsa_exception_fp_ieee_div_zero 0
		.amdhsa_exception_fp_ieee_overflow 0
		.amdhsa_exception_fp_ieee_underflow 0
		.amdhsa_exception_fp_ieee_inexact 0
		.amdhsa_exception_int_div_zero 0
	.end_amdhsa_kernel
	.section	.text._ZN9rocsparse29copy_farray_mix_safe_kernel_tIfjvE3runILj1024EEEvmPfPKjPj,"axG",@progbits,_ZN9rocsparse29copy_farray_mix_safe_kernel_tIfjvE3runILj1024EEEvmPfPKjPj,comdat
.Lfunc_end71:
	.size	_ZN9rocsparse29copy_farray_mix_safe_kernel_tIfjvE3runILj1024EEEvmPfPKjPj, .Lfunc_end71-_ZN9rocsparse29copy_farray_mix_safe_kernel_tIfjvE3runILj1024EEEvmPfPKjPj
                                        ; -- End function
	.section	.AMDGPU.csdata,"",@progbits
; Kernel info:
; codeLenInByte = 4
; NumSgprs: 0
; NumVgprs: 0
; ScratchSize: 0
; MemoryBound: 0
; FloatMode: 240
; IeeeMode: 1
; LDSByteSize: 0 bytes/workgroup (compile time only)
; SGPRBlocks: 0
; VGPRBlocks: 0
; NumSGPRsForWavesPerEU: 1
; NumVGPRsForWavesPerEU: 1
; Occupancy: 16
; WaveLimiterHint : 0
; COMPUTE_PGM_RSRC2:SCRATCH_EN: 0
; COMPUTE_PGM_RSRC2:USER_SGPR: 15
; COMPUTE_PGM_RSRC2:TRAP_HANDLER: 0
; COMPUTE_PGM_RSRC2:TGID_X_EN: 1
; COMPUTE_PGM_RSRC2:TGID_Y_EN: 0
; COMPUTE_PGM_RSRC2:TGID_Z_EN: 0
; COMPUTE_PGM_RSRC2:TIDIG_COMP_CNT: 0
	.section	.text._ZN9rocsparse29copy_farray_mix_safe_kernel_tIfDF16_vE3runILj1024EEEvmPfPKDF16_PDF16_,"axG",@progbits,_ZN9rocsparse29copy_farray_mix_safe_kernel_tIfDF16_vE3runILj1024EEEvmPfPKDF16_PDF16_,comdat
	.protected	_ZN9rocsparse29copy_farray_mix_safe_kernel_tIfDF16_vE3runILj1024EEEvmPfPKDF16_PDF16_ ; -- Begin function _ZN9rocsparse29copy_farray_mix_safe_kernel_tIfDF16_vE3runILj1024EEEvmPfPKDF16_PDF16_
	.globl	_ZN9rocsparse29copy_farray_mix_safe_kernel_tIfDF16_vE3runILj1024EEEvmPfPKDF16_PDF16_
	.p2align	8
	.type	_ZN9rocsparse29copy_farray_mix_safe_kernel_tIfDF16_vE3runILj1024EEEvmPfPKDF16_PDF16_,@function
_ZN9rocsparse29copy_farray_mix_safe_kernel_tIfDF16_vE3runILj1024EEEvmPfPKDF16_PDF16_: ; @_ZN9rocsparse29copy_farray_mix_safe_kernel_tIfDF16_vE3runILj1024EEEvmPfPKDF16_PDF16_
; %bb.0:
	s_endpgm
	.section	.rodata,"a",@progbits
	.p2align	6, 0x0
	.amdhsa_kernel _ZN9rocsparse29copy_farray_mix_safe_kernel_tIfDF16_vE3runILj1024EEEvmPfPKDF16_PDF16_
		.amdhsa_group_segment_fixed_size 0
		.amdhsa_private_segment_fixed_size 0
		.amdhsa_kernarg_size 32
		.amdhsa_user_sgpr_count 15
		.amdhsa_user_sgpr_dispatch_ptr 0
		.amdhsa_user_sgpr_queue_ptr 0
		.amdhsa_user_sgpr_kernarg_segment_ptr 1
		.amdhsa_user_sgpr_dispatch_id 0
		.amdhsa_user_sgpr_private_segment_size 0
		.amdhsa_wavefront_size32 1
		.amdhsa_uses_dynamic_stack 0
		.amdhsa_enable_private_segment 0
		.amdhsa_system_sgpr_workgroup_id_x 1
		.amdhsa_system_sgpr_workgroup_id_y 0
		.amdhsa_system_sgpr_workgroup_id_z 0
		.amdhsa_system_sgpr_workgroup_info 0
		.amdhsa_system_vgpr_workitem_id 0
		.amdhsa_next_free_vgpr 1
		.amdhsa_next_free_sgpr 1
		.amdhsa_reserve_vcc 0
		.amdhsa_float_round_mode_32 0
		.amdhsa_float_round_mode_16_64 0
		.amdhsa_float_denorm_mode_32 3
		.amdhsa_float_denorm_mode_16_64 3
		.amdhsa_dx10_clamp 1
		.amdhsa_ieee_mode 1
		.amdhsa_fp16_overflow 0
		.amdhsa_workgroup_processor_mode 1
		.amdhsa_memory_ordered 1
		.amdhsa_forward_progress 0
		.amdhsa_shared_vgpr_count 0
		.amdhsa_exception_fp_ieee_invalid_op 0
		.amdhsa_exception_fp_denorm_src 0
		.amdhsa_exception_fp_ieee_div_zero 0
		.amdhsa_exception_fp_ieee_overflow 0
		.amdhsa_exception_fp_ieee_underflow 0
		.amdhsa_exception_fp_ieee_inexact 0
		.amdhsa_exception_int_div_zero 0
	.end_amdhsa_kernel
	.section	.text._ZN9rocsparse29copy_farray_mix_safe_kernel_tIfDF16_vE3runILj1024EEEvmPfPKDF16_PDF16_,"axG",@progbits,_ZN9rocsparse29copy_farray_mix_safe_kernel_tIfDF16_vE3runILj1024EEEvmPfPKDF16_PDF16_,comdat
.Lfunc_end72:
	.size	_ZN9rocsparse29copy_farray_mix_safe_kernel_tIfDF16_vE3runILj1024EEEvmPfPKDF16_PDF16_, .Lfunc_end72-_ZN9rocsparse29copy_farray_mix_safe_kernel_tIfDF16_vE3runILj1024EEEvmPfPKDF16_PDF16_
                                        ; -- End function
	.section	.AMDGPU.csdata,"",@progbits
; Kernel info:
; codeLenInByte = 4
; NumSgprs: 0
; NumVgprs: 0
; ScratchSize: 0
; MemoryBound: 0
; FloatMode: 240
; IeeeMode: 1
; LDSByteSize: 0 bytes/workgroup (compile time only)
; SGPRBlocks: 0
; VGPRBlocks: 0
; NumSGPRsForWavesPerEU: 1
; NumVGPRsForWavesPerEU: 1
; Occupancy: 16
; WaveLimiterHint : 0
; COMPUTE_PGM_RSRC2:SCRATCH_EN: 0
; COMPUTE_PGM_RSRC2:USER_SGPR: 15
; COMPUTE_PGM_RSRC2:TRAP_HANDLER: 0
; COMPUTE_PGM_RSRC2:TGID_X_EN: 1
; COMPUTE_PGM_RSRC2:TGID_Y_EN: 0
; COMPUTE_PGM_RSRC2:TGID_Z_EN: 0
; COMPUTE_PGM_RSRC2:TIDIG_COMP_CNT: 0
	.section	.text._ZN9rocsparse29copy_farray_mix_safe_kernel_tIf18rocsparse_bfloat16vE3runILj1024EEEvmPfPKS1_PS1_,"axG",@progbits,_ZN9rocsparse29copy_farray_mix_safe_kernel_tIf18rocsparse_bfloat16vE3runILj1024EEEvmPfPKS1_PS1_,comdat
	.protected	_ZN9rocsparse29copy_farray_mix_safe_kernel_tIf18rocsparse_bfloat16vE3runILj1024EEEvmPfPKS1_PS1_ ; -- Begin function _ZN9rocsparse29copy_farray_mix_safe_kernel_tIf18rocsparse_bfloat16vE3runILj1024EEEvmPfPKS1_PS1_
	.globl	_ZN9rocsparse29copy_farray_mix_safe_kernel_tIf18rocsparse_bfloat16vE3runILj1024EEEvmPfPKS1_PS1_
	.p2align	8
	.type	_ZN9rocsparse29copy_farray_mix_safe_kernel_tIf18rocsparse_bfloat16vE3runILj1024EEEvmPfPKS1_PS1_,@function
_ZN9rocsparse29copy_farray_mix_safe_kernel_tIf18rocsparse_bfloat16vE3runILj1024EEEvmPfPKS1_PS1_: ; @_ZN9rocsparse29copy_farray_mix_safe_kernel_tIf18rocsparse_bfloat16vE3runILj1024EEEvmPfPKS1_PS1_
; %bb.0:
	s_endpgm
	.section	.rodata,"a",@progbits
	.p2align	6, 0x0
	.amdhsa_kernel _ZN9rocsparse29copy_farray_mix_safe_kernel_tIf18rocsparse_bfloat16vE3runILj1024EEEvmPfPKS1_PS1_
		.amdhsa_group_segment_fixed_size 0
		.amdhsa_private_segment_fixed_size 0
		.amdhsa_kernarg_size 32
		.amdhsa_user_sgpr_count 15
		.amdhsa_user_sgpr_dispatch_ptr 0
		.amdhsa_user_sgpr_queue_ptr 0
		.amdhsa_user_sgpr_kernarg_segment_ptr 1
		.amdhsa_user_sgpr_dispatch_id 0
		.amdhsa_user_sgpr_private_segment_size 0
		.amdhsa_wavefront_size32 1
		.amdhsa_uses_dynamic_stack 0
		.amdhsa_enable_private_segment 0
		.amdhsa_system_sgpr_workgroup_id_x 1
		.amdhsa_system_sgpr_workgroup_id_y 0
		.amdhsa_system_sgpr_workgroup_id_z 0
		.amdhsa_system_sgpr_workgroup_info 0
		.amdhsa_system_vgpr_workitem_id 0
		.amdhsa_next_free_vgpr 1
		.amdhsa_next_free_sgpr 1
		.amdhsa_reserve_vcc 0
		.amdhsa_float_round_mode_32 0
		.amdhsa_float_round_mode_16_64 0
		.amdhsa_float_denorm_mode_32 3
		.amdhsa_float_denorm_mode_16_64 3
		.amdhsa_dx10_clamp 1
		.amdhsa_ieee_mode 1
		.amdhsa_fp16_overflow 0
		.amdhsa_workgroup_processor_mode 1
		.amdhsa_memory_ordered 1
		.amdhsa_forward_progress 0
		.amdhsa_shared_vgpr_count 0
		.amdhsa_exception_fp_ieee_invalid_op 0
		.amdhsa_exception_fp_denorm_src 0
		.amdhsa_exception_fp_ieee_div_zero 0
		.amdhsa_exception_fp_ieee_overflow 0
		.amdhsa_exception_fp_ieee_underflow 0
		.amdhsa_exception_fp_ieee_inexact 0
		.amdhsa_exception_int_div_zero 0
	.end_amdhsa_kernel
	.section	.text._ZN9rocsparse29copy_farray_mix_safe_kernel_tIf18rocsparse_bfloat16vE3runILj1024EEEvmPfPKS1_PS1_,"axG",@progbits,_ZN9rocsparse29copy_farray_mix_safe_kernel_tIf18rocsparse_bfloat16vE3runILj1024EEEvmPfPKS1_PS1_,comdat
.Lfunc_end73:
	.size	_ZN9rocsparse29copy_farray_mix_safe_kernel_tIf18rocsparse_bfloat16vE3runILj1024EEEvmPfPKS1_PS1_, .Lfunc_end73-_ZN9rocsparse29copy_farray_mix_safe_kernel_tIf18rocsparse_bfloat16vE3runILj1024EEEvmPfPKS1_PS1_
                                        ; -- End function
	.section	.AMDGPU.csdata,"",@progbits
; Kernel info:
; codeLenInByte = 4
; NumSgprs: 0
; NumVgprs: 0
; ScratchSize: 0
; MemoryBound: 0
; FloatMode: 240
; IeeeMode: 1
; LDSByteSize: 0 bytes/workgroup (compile time only)
; SGPRBlocks: 0
; VGPRBlocks: 0
; NumSGPRsForWavesPerEU: 1
; NumVGPRsForWavesPerEU: 1
; Occupancy: 16
; WaveLimiterHint : 0
; COMPUTE_PGM_RSRC2:SCRATCH_EN: 0
; COMPUTE_PGM_RSRC2:USER_SGPR: 15
; COMPUTE_PGM_RSRC2:TRAP_HANDLER: 0
; COMPUTE_PGM_RSRC2:TGID_X_EN: 1
; COMPUTE_PGM_RSRC2:TGID_Y_EN: 0
; COMPUTE_PGM_RSRC2:TGID_Z_EN: 0
; COMPUTE_PGM_RSRC2:TIDIG_COMP_CNT: 0
	.section	.text._ZN9rocsparse29copy_farray_mix_safe_kernel_tIffvE3runILj1024EEEvmPfPKfS3_,"axG",@progbits,_ZN9rocsparse29copy_farray_mix_safe_kernel_tIffvE3runILj1024EEEvmPfPKfS3_,comdat
	.protected	_ZN9rocsparse29copy_farray_mix_safe_kernel_tIffvE3runILj1024EEEvmPfPKfS3_ ; -- Begin function _ZN9rocsparse29copy_farray_mix_safe_kernel_tIffvE3runILj1024EEEvmPfPKfS3_
	.globl	_ZN9rocsparse29copy_farray_mix_safe_kernel_tIffvE3runILj1024EEEvmPfPKfS3_
	.p2align	8
	.type	_ZN9rocsparse29copy_farray_mix_safe_kernel_tIffvE3runILj1024EEEvmPfPKfS3_,@function
_ZN9rocsparse29copy_farray_mix_safe_kernel_tIffvE3runILj1024EEEvmPfPKfS3_: ; @_ZN9rocsparse29copy_farray_mix_safe_kernel_tIffvE3runILj1024EEEvmPfPKfS3_
; %bb.0:
	s_load_b128 s[4:7], s[0:1], 0x0
	v_lshl_or_b32 v0, s15, 10, v0
	v_mov_b32_e32 v1, 0
	s_mov_b32 s2, exec_lo
	s_waitcnt lgkmcnt(0)
	s_delay_alu instid0(VALU_DEP_1)
	v_cmpx_gt_u64_e64 s[4:5], v[0:1]
	s_cbranch_execz .LBB74_2
; %bb.1:
	s_load_b64 s[0:1], s[0:1], 0x10
	v_lshlrev_b64 v[0:1], 2, v[0:1]
	s_waitcnt lgkmcnt(0)
	s_delay_alu instid0(VALU_DEP_1) | instskip(NEXT) | instid1(VALU_DEP_2)
	v_add_co_u32 v2, vcc_lo, s0, v0
	v_add_co_ci_u32_e32 v3, vcc_lo, s1, v1, vcc_lo
	v_add_co_u32 v0, vcc_lo, s6, v0
	v_add_co_ci_u32_e32 v1, vcc_lo, s7, v1, vcc_lo
	global_load_b32 v2, v[2:3], off
	s_waitcnt vmcnt(0)
	global_store_b32 v[0:1], v2, off
.LBB74_2:
	s_nop 0
	s_sendmsg sendmsg(MSG_DEALLOC_VGPRS)
	s_endpgm
	.section	.rodata,"a",@progbits
	.p2align	6, 0x0
	.amdhsa_kernel _ZN9rocsparse29copy_farray_mix_safe_kernel_tIffvE3runILj1024EEEvmPfPKfS3_
		.amdhsa_group_segment_fixed_size 0
		.amdhsa_private_segment_fixed_size 0
		.amdhsa_kernarg_size 32
		.amdhsa_user_sgpr_count 15
		.amdhsa_user_sgpr_dispatch_ptr 0
		.amdhsa_user_sgpr_queue_ptr 0
		.amdhsa_user_sgpr_kernarg_segment_ptr 1
		.amdhsa_user_sgpr_dispatch_id 0
		.amdhsa_user_sgpr_private_segment_size 0
		.amdhsa_wavefront_size32 1
		.amdhsa_uses_dynamic_stack 0
		.amdhsa_enable_private_segment 0
		.amdhsa_system_sgpr_workgroup_id_x 1
		.amdhsa_system_sgpr_workgroup_id_y 0
		.amdhsa_system_sgpr_workgroup_id_z 0
		.amdhsa_system_sgpr_workgroup_info 0
		.amdhsa_system_vgpr_workitem_id 0
		.amdhsa_next_free_vgpr 4
		.amdhsa_next_free_sgpr 16
		.amdhsa_reserve_vcc 1
		.amdhsa_float_round_mode_32 0
		.amdhsa_float_round_mode_16_64 0
		.amdhsa_float_denorm_mode_32 3
		.amdhsa_float_denorm_mode_16_64 3
		.amdhsa_dx10_clamp 1
		.amdhsa_ieee_mode 1
		.amdhsa_fp16_overflow 0
		.amdhsa_workgroup_processor_mode 1
		.amdhsa_memory_ordered 1
		.amdhsa_forward_progress 0
		.amdhsa_shared_vgpr_count 0
		.amdhsa_exception_fp_ieee_invalid_op 0
		.amdhsa_exception_fp_denorm_src 0
		.amdhsa_exception_fp_ieee_div_zero 0
		.amdhsa_exception_fp_ieee_overflow 0
		.amdhsa_exception_fp_ieee_underflow 0
		.amdhsa_exception_fp_ieee_inexact 0
		.amdhsa_exception_int_div_zero 0
	.end_amdhsa_kernel
	.section	.text._ZN9rocsparse29copy_farray_mix_safe_kernel_tIffvE3runILj1024EEEvmPfPKfS3_,"axG",@progbits,_ZN9rocsparse29copy_farray_mix_safe_kernel_tIffvE3runILj1024EEEvmPfPKfS3_,comdat
.Lfunc_end74:
	.size	_ZN9rocsparse29copy_farray_mix_safe_kernel_tIffvE3runILj1024EEEvmPfPKfS3_, .Lfunc_end74-_ZN9rocsparse29copy_farray_mix_safe_kernel_tIffvE3runILj1024EEEvmPfPKfS3_
                                        ; -- End function
	.section	.AMDGPU.csdata,"",@progbits
; Kernel info:
; codeLenInByte = 124
; NumSgprs: 18
; NumVgprs: 4
; ScratchSize: 0
; MemoryBound: 0
; FloatMode: 240
; IeeeMode: 1
; LDSByteSize: 0 bytes/workgroup (compile time only)
; SGPRBlocks: 2
; VGPRBlocks: 0
; NumSGPRsForWavesPerEU: 18
; NumVGPRsForWavesPerEU: 4
; Occupancy: 16
; WaveLimiterHint : 0
; COMPUTE_PGM_RSRC2:SCRATCH_EN: 0
; COMPUTE_PGM_RSRC2:USER_SGPR: 15
; COMPUTE_PGM_RSRC2:TRAP_HANDLER: 0
; COMPUTE_PGM_RSRC2:TGID_X_EN: 1
; COMPUTE_PGM_RSRC2:TGID_Y_EN: 0
; COMPUTE_PGM_RSRC2:TGID_Z_EN: 0
; COMPUTE_PGM_RSRC2:TIDIG_COMP_CNT: 0
	.section	.text._ZN9rocsparse29copy_farray_mix_safe_kernel_tIfdvE3runILj1024EEEvmPfPKdPd,"axG",@progbits,_ZN9rocsparse29copy_farray_mix_safe_kernel_tIfdvE3runILj1024EEEvmPfPKdPd,comdat
	.protected	_ZN9rocsparse29copy_farray_mix_safe_kernel_tIfdvE3runILj1024EEEvmPfPKdPd ; -- Begin function _ZN9rocsparse29copy_farray_mix_safe_kernel_tIfdvE3runILj1024EEEvmPfPKdPd
	.globl	_ZN9rocsparse29copy_farray_mix_safe_kernel_tIfdvE3runILj1024EEEvmPfPKdPd
	.p2align	8
	.type	_ZN9rocsparse29copy_farray_mix_safe_kernel_tIfdvE3runILj1024EEEvmPfPKdPd,@function
_ZN9rocsparse29copy_farray_mix_safe_kernel_tIfdvE3runILj1024EEEvmPfPKdPd: ; @_ZN9rocsparse29copy_farray_mix_safe_kernel_tIfdvE3runILj1024EEEvmPfPKdPd
; %bb.0:
	s_load_b256 s[0:7], s[0:1], 0x0
	v_dual_mov_b32 v2, 0 :: v_dual_mov_b32 v3, 0
	v_lshl_or_b32 v1, s15, 10, v0
	v_mov_b32_e32 v4, 0
	s_waitcnt lgkmcnt(0)
	s_delay_alu instid0(VALU_DEP_2)
	v_cmp_gt_u64_e32 vcc_lo, s[0:1], v[1:2]
	s_and_saveexec_b32 s1, vcc_lo
	s_cbranch_execz .LBB75_2
; %bb.1:
	v_lshlrev_b64 v[3:4], 3, v[1:2]
	v_lshlrev_b64 v[1:2], 2, v[1:2]
	s_delay_alu instid0(VALU_DEP_2) | instskip(NEXT) | instid1(VALU_DEP_3)
	v_add_co_u32 v3, vcc_lo, s4, v3
	v_add_co_ci_u32_e32 v4, vcc_lo, s5, v4, vcc_lo
	s_delay_alu instid0(VALU_DEP_3) | instskip(NEXT) | instid1(VALU_DEP_1)
	v_add_co_u32 v1, s0, s2, v1
	v_add_co_ci_u32_e64 v2, s0, s3, v2, s0
	global_load_b64 v[3:4], v[3:4], off
	s_waitcnt vmcnt(0)
	v_cvt_f32_f64_e32 v7, v[3:4]
	s_delay_alu instid0(VALU_DEP_1) | instskip(SKIP_2) | instid1(VALU_DEP_1)
	v_cvt_f64_f32_e32 v[5:6], v7
	global_store_b32 v[1:2], v7, off
	v_add_f64 v[3:4], v[3:4], -v[5:6]
	v_cmp_gt_f64_e32 vcc_lo, 0, v[3:4]
	v_xor_b32_e32 v5, 0x80000000, v4
	s_delay_alu instid0(VALU_DEP_1)
	v_dual_cndmask_b32 v4, v4, v5 :: v_dual_cndmask_b32 v3, v3, v3
.LBB75_2:
	s_or_b32 exec_lo, exec_lo, s1
	v_lshlrev_b32_e32 v1, 3, v0
	s_mov_b32 s0, exec_lo
	ds_store_b64 v1, v[3:4]
	s_waitcnt lgkmcnt(0)
	s_waitcnt_vscnt null, 0x0
	s_barrier
	buffer_gl0_inv
	v_cmpx_gt_u32_e32 0x200, v0
	s_cbranch_execz .LBB75_4
; %bb.3:
	ds_load_2addr_stride64_b64 v[2:5], v1 offset1:8
	s_waitcnt lgkmcnt(0)
	v_cmp_lt_f64_e32 vcc_lo, v[2:3], v[4:5]
	v_dual_cndmask_b32 v3, v3, v5 :: v_dual_cndmask_b32 v2, v2, v4
	ds_store_b64 v1, v[2:3]
.LBB75_4:
	s_or_b32 exec_lo, exec_lo, s0
	s_delay_alu instid0(SALU_CYCLE_1)
	s_mov_b32 s0, exec_lo
	s_waitcnt lgkmcnt(0)
	s_barrier
	buffer_gl0_inv
	v_cmpx_gt_u32_e32 0x100, v0
	s_cbranch_execz .LBB75_6
; %bb.5:
	ds_load_2addr_stride64_b64 v[2:5], v1 offset1:4
	s_waitcnt lgkmcnt(0)
	v_cmp_lt_f64_e32 vcc_lo, v[2:3], v[4:5]
	v_dual_cndmask_b32 v3, v3, v5 :: v_dual_cndmask_b32 v2, v2, v4
	ds_store_b64 v1, v[2:3]
.LBB75_6:
	s_or_b32 exec_lo, exec_lo, s0
	s_delay_alu instid0(SALU_CYCLE_1)
	s_mov_b32 s0, exec_lo
	s_waitcnt lgkmcnt(0)
	;; [unrolled: 15-line block ×4, first 2 shown]
	s_barrier
	buffer_gl0_inv
	v_cmpx_gt_u32_e32 32, v0
	s_cbranch_execz .LBB75_12
; %bb.11:
	ds_load_2addr_b64 v[2:5], v1 offset1:32
	s_waitcnt lgkmcnt(0)
	v_cmp_lt_f64_e32 vcc_lo, v[2:3], v[4:5]
	v_dual_cndmask_b32 v3, v3, v5 :: v_dual_cndmask_b32 v2, v2, v4
	ds_store_b64 v1, v[2:3]
.LBB75_12:
	s_or_b32 exec_lo, exec_lo, s0
	s_delay_alu instid0(SALU_CYCLE_1)
	s_mov_b32 s0, exec_lo
	s_waitcnt lgkmcnt(0)
	s_barrier
	buffer_gl0_inv
	v_cmpx_gt_u32_e32 16, v0
	s_cbranch_execz .LBB75_14
; %bb.13:
	ds_load_2addr_b64 v[2:5], v1 offset1:16
	s_waitcnt lgkmcnt(0)
	v_cmp_lt_f64_e32 vcc_lo, v[2:3], v[4:5]
	v_dual_cndmask_b32 v3, v3, v5 :: v_dual_cndmask_b32 v2, v2, v4
	ds_store_b64 v1, v[2:3]
.LBB75_14:
	s_or_b32 exec_lo, exec_lo, s0
	s_delay_alu instid0(SALU_CYCLE_1)
	s_mov_b32 s0, exec_lo
	s_waitcnt lgkmcnt(0)
	;; [unrolled: 15-line block ×4, first 2 shown]
	s_barrier
	buffer_gl0_inv
	v_cmpx_gt_u32_e32 2, v0
	s_cbranch_execz .LBB75_20
; %bb.19:
	ds_load_2addr_b64 v[2:5], v1 offset1:2
	s_waitcnt lgkmcnt(0)
	v_cmp_lt_f64_e32 vcc_lo, v[2:3], v[4:5]
	v_dual_cndmask_b32 v3, v3, v5 :: v_dual_cndmask_b32 v2, v2, v4
	ds_store_b64 v1, v[2:3]
.LBB75_20:
	s_or_b32 exec_lo, exec_lo, s0
	v_cmp_eq_u32_e32 vcc_lo, 0, v0
	s_waitcnt lgkmcnt(0)
	s_barrier
	buffer_gl0_inv
	s_and_saveexec_b32 s1, vcc_lo
	s_cbranch_execz .LBB75_22
; %bb.21:
	v_mov_b32_e32 v4, 0
	ds_load_b128 v[0:3], v4
	s_waitcnt lgkmcnt(0)
	v_cmp_lt_f64_e64 s0, v[0:1], v[2:3]
	s_delay_alu instid0(VALU_DEP_1)
	v_cndmask_b32_e64 v1, v1, v3, s0
	v_cndmask_b32_e64 v0, v0, v2, s0
	ds_store_b64 v4, v[0:1]
.LBB75_22:
	s_or_b32 exec_lo, exec_lo, s1
	s_waitcnt lgkmcnt(0)
	s_barrier
	buffer_gl0_inv
	s_and_saveexec_b32 s0, vcc_lo
	s_cbranch_execz .LBB75_28
; %bb.23:
	v_mov_b32_e32 v6, 0
	s_brev_b32 s3, 1
	s_mov_b32 s2, 0
                                        ; implicit-def: $sgpr1
	ds_load_b64 v[0:1], v6
	global_load_b64 v[4:5], v6, s[6:7] glc
	s_waitcnt lgkmcnt(0)
	v_cmp_eq_f64_e32 vcc_lo, 0, v[0:1]
	s_waitcnt vmcnt(0)
	v_cmp_eq_u64_e64 s4, s[2:3], v[4:5]
                                        ; implicit-def: $sgpr3
	s_set_inst_prefetch_distance 0x1
	s_branch .LBB75_25
	.p2align	6
.LBB75_24:                              ;   in Loop: Header=BB75_25 Depth=1
	s_or_b32 exec_lo, exec_lo, s5
	s_delay_alu instid0(SALU_CYCLE_1) | instskip(NEXT) | instid1(SALU_CYCLE_1)
	s_and_b32 s0, exec_lo, s1
	s_or_b32 s2, s0, s2
	s_and_not1_b32 s0, s4, exec_lo
	s_and_b32 s4, s3, exec_lo
	s_delay_alu instid0(SALU_CYCLE_1)
	s_or_b32 s4, s0, s4
	s_and_not1_b32 exec_lo, exec_lo, s2
	s_cbranch_execz .LBB75_27
.LBB75_25:                              ; =>This Inner Loop Header: Depth=1
	v_dual_mov_b32 v2, v4 :: v_dual_mov_b32 v3, v5
	s_delay_alu instid0(VALU_DEP_2) | instskip(SKIP_2) | instid1(VALU_DEP_1)
	s_and_b32 s5, vcc_lo, s4
	s_and_not1_b32 s3, s3, exec_lo
	s_or_b32 s1, s1, exec_lo
                                        ; implicit-def: $vgpr4_vgpr5
	v_cmp_lt_f64_e64 s0, v[2:3], v[0:1]
	s_delay_alu instid0(VALU_DEP_1) | instskip(NEXT) | instid1(SALU_CYCLE_1)
	s_or_b32 s0, s0, s5
	s_and_saveexec_b32 s5, s0
	s_cbranch_execz .LBB75_24
; %bb.26:                               ;   in Loop: Header=BB75_25 Depth=1
	global_atomic_cmpswap_b64 v[4:5], v6, v[0:3], s[6:7] glc
	s_and_not1_b32 s3, s3, exec_lo
	s_and_not1_b32 s1, s1, exec_lo
	s_waitcnt vmcnt(0)
	v_cmp_eq_u64_e64 s0, v[4:5], v[2:3]
	s_delay_alu instid0(VALU_DEP_1) | instskip(SKIP_2) | instid1(SALU_CYCLE_1)
	v_cndmask_b32_e64 v8, v5, v3, s0
	v_cndmask_b32_e64 v7, v4, v2, s0
	s_and_b32 s0, s0, exec_lo
	s_or_b32 s1, s1, s0
	s_delay_alu instid0(VALU_DEP_1) | instskip(NEXT) | instid1(VALU_DEP_1)
	v_cmp_class_f64_e64 s4, v[7:8], 32
	s_and_b32 s4, s4, exec_lo
	s_delay_alu instid0(SALU_CYCLE_1)
	s_or_b32 s3, s3, s4
                                        ; implicit-def: $sgpr4
	s_branch .LBB75_24
.LBB75_27:
	s_set_inst_prefetch_distance 0x2
	s_or_b32 exec_lo, exec_lo, s2
	v_mov_b32_e32 v0, 0
	ds_store_b64 v0, v[2:3]
.LBB75_28:
	s_endpgm
	.section	.rodata,"a",@progbits
	.p2align	6, 0x0
	.amdhsa_kernel _ZN9rocsparse29copy_farray_mix_safe_kernel_tIfdvE3runILj1024EEEvmPfPKdPd
		.amdhsa_group_segment_fixed_size 8192
		.amdhsa_private_segment_fixed_size 0
		.amdhsa_kernarg_size 32
		.amdhsa_user_sgpr_count 15
		.amdhsa_user_sgpr_dispatch_ptr 0
		.amdhsa_user_sgpr_queue_ptr 0
		.amdhsa_user_sgpr_kernarg_segment_ptr 1
		.amdhsa_user_sgpr_dispatch_id 0
		.amdhsa_user_sgpr_private_segment_size 0
		.amdhsa_wavefront_size32 1
		.amdhsa_uses_dynamic_stack 0
		.amdhsa_enable_private_segment 0
		.amdhsa_system_sgpr_workgroup_id_x 1
		.amdhsa_system_sgpr_workgroup_id_y 0
		.amdhsa_system_sgpr_workgroup_id_z 0
		.amdhsa_system_sgpr_workgroup_info 0
		.amdhsa_system_vgpr_workitem_id 0
		.amdhsa_next_free_vgpr 9
		.amdhsa_next_free_sgpr 16
		.amdhsa_reserve_vcc 1
		.amdhsa_float_round_mode_32 0
		.amdhsa_float_round_mode_16_64 0
		.amdhsa_float_denorm_mode_32 3
		.amdhsa_float_denorm_mode_16_64 3
		.amdhsa_dx10_clamp 1
		.amdhsa_ieee_mode 1
		.amdhsa_fp16_overflow 0
		.amdhsa_workgroup_processor_mode 1
		.amdhsa_memory_ordered 1
		.amdhsa_forward_progress 0
		.amdhsa_shared_vgpr_count 0
		.amdhsa_exception_fp_ieee_invalid_op 0
		.amdhsa_exception_fp_denorm_src 0
		.amdhsa_exception_fp_ieee_div_zero 0
		.amdhsa_exception_fp_ieee_overflow 0
		.amdhsa_exception_fp_ieee_underflow 0
		.amdhsa_exception_fp_ieee_inexact 0
		.amdhsa_exception_int_div_zero 0
	.end_amdhsa_kernel
	.section	.text._ZN9rocsparse29copy_farray_mix_safe_kernel_tIfdvE3runILj1024EEEvmPfPKdPd,"axG",@progbits,_ZN9rocsparse29copy_farray_mix_safe_kernel_tIfdvE3runILj1024EEEvmPfPKdPd,comdat
.Lfunc_end75:
	.size	_ZN9rocsparse29copy_farray_mix_safe_kernel_tIfdvE3runILj1024EEEvmPfPKdPd, .Lfunc_end75-_ZN9rocsparse29copy_farray_mix_safe_kernel_tIfdvE3runILj1024EEEvmPfPKdPd
                                        ; -- End function
	.section	.AMDGPU.csdata,"",@progbits
; Kernel info:
; codeLenInByte = 1164
; NumSgprs: 18
; NumVgprs: 9
; ScratchSize: 0
; MemoryBound: 0
; FloatMode: 240
; IeeeMode: 1
; LDSByteSize: 8192 bytes/workgroup (compile time only)
; SGPRBlocks: 2
; VGPRBlocks: 1
; NumSGPRsForWavesPerEU: 18
; NumVGPRsForWavesPerEU: 9
; Occupancy: 16
; WaveLimiterHint : 0
; COMPUTE_PGM_RSRC2:SCRATCH_EN: 0
; COMPUTE_PGM_RSRC2:USER_SGPR: 15
; COMPUTE_PGM_RSRC2:TRAP_HANDLER: 0
; COMPUTE_PGM_RSRC2:TGID_X_EN: 1
; COMPUTE_PGM_RSRC2:TGID_Y_EN: 0
; COMPUTE_PGM_RSRC2:TGID_Z_EN: 0
; COMPUTE_PGM_RSRC2:TIDIG_COMP_CNT: 0
	.section	.text._ZN9rocsparse29copy_farray_mix_safe_kernel_tIf21rocsparse_complex_numIfEvE3runILj1024EEEvmPfPKS2_S5_,"axG",@progbits,_ZN9rocsparse29copy_farray_mix_safe_kernel_tIf21rocsparse_complex_numIfEvE3runILj1024EEEvmPfPKS2_S5_,comdat
	.protected	_ZN9rocsparse29copy_farray_mix_safe_kernel_tIf21rocsparse_complex_numIfEvE3runILj1024EEEvmPfPKS2_S5_ ; -- Begin function _ZN9rocsparse29copy_farray_mix_safe_kernel_tIf21rocsparse_complex_numIfEvE3runILj1024EEEvmPfPKS2_S5_
	.globl	_ZN9rocsparse29copy_farray_mix_safe_kernel_tIf21rocsparse_complex_numIfEvE3runILj1024EEEvmPfPKS2_S5_
	.p2align	8
	.type	_ZN9rocsparse29copy_farray_mix_safe_kernel_tIf21rocsparse_complex_numIfEvE3runILj1024EEEvmPfPKS2_S5_,@function
_ZN9rocsparse29copy_farray_mix_safe_kernel_tIf21rocsparse_complex_numIfEvE3runILj1024EEEvmPfPKS2_S5_: ; @_ZN9rocsparse29copy_farray_mix_safe_kernel_tIf21rocsparse_complex_numIfEvE3runILj1024EEEvmPfPKS2_S5_
; %bb.0:
	s_endpgm
	.section	.rodata,"a",@progbits
	.p2align	6, 0x0
	.amdhsa_kernel _ZN9rocsparse29copy_farray_mix_safe_kernel_tIf21rocsparse_complex_numIfEvE3runILj1024EEEvmPfPKS2_S5_
		.amdhsa_group_segment_fixed_size 0
		.amdhsa_private_segment_fixed_size 0
		.amdhsa_kernarg_size 32
		.amdhsa_user_sgpr_count 15
		.amdhsa_user_sgpr_dispatch_ptr 0
		.amdhsa_user_sgpr_queue_ptr 0
		.amdhsa_user_sgpr_kernarg_segment_ptr 1
		.amdhsa_user_sgpr_dispatch_id 0
		.amdhsa_user_sgpr_private_segment_size 0
		.amdhsa_wavefront_size32 1
		.amdhsa_uses_dynamic_stack 0
		.amdhsa_enable_private_segment 0
		.amdhsa_system_sgpr_workgroup_id_x 1
		.amdhsa_system_sgpr_workgroup_id_y 0
		.amdhsa_system_sgpr_workgroup_id_z 0
		.amdhsa_system_sgpr_workgroup_info 0
		.amdhsa_system_vgpr_workitem_id 0
		.amdhsa_next_free_vgpr 1
		.amdhsa_next_free_sgpr 1
		.amdhsa_reserve_vcc 0
		.amdhsa_float_round_mode_32 0
		.amdhsa_float_round_mode_16_64 0
		.amdhsa_float_denorm_mode_32 3
		.amdhsa_float_denorm_mode_16_64 3
		.amdhsa_dx10_clamp 1
		.amdhsa_ieee_mode 1
		.amdhsa_fp16_overflow 0
		.amdhsa_workgroup_processor_mode 1
		.amdhsa_memory_ordered 1
		.amdhsa_forward_progress 0
		.amdhsa_shared_vgpr_count 0
		.amdhsa_exception_fp_ieee_invalid_op 0
		.amdhsa_exception_fp_denorm_src 0
		.amdhsa_exception_fp_ieee_div_zero 0
		.amdhsa_exception_fp_ieee_overflow 0
		.amdhsa_exception_fp_ieee_underflow 0
		.amdhsa_exception_fp_ieee_inexact 0
		.amdhsa_exception_int_div_zero 0
	.end_amdhsa_kernel
	.section	.text._ZN9rocsparse29copy_farray_mix_safe_kernel_tIf21rocsparse_complex_numIfEvE3runILj1024EEEvmPfPKS2_S5_,"axG",@progbits,_ZN9rocsparse29copy_farray_mix_safe_kernel_tIf21rocsparse_complex_numIfEvE3runILj1024EEEvmPfPKS2_S5_,comdat
.Lfunc_end76:
	.size	_ZN9rocsparse29copy_farray_mix_safe_kernel_tIf21rocsparse_complex_numIfEvE3runILj1024EEEvmPfPKS2_S5_, .Lfunc_end76-_ZN9rocsparse29copy_farray_mix_safe_kernel_tIf21rocsparse_complex_numIfEvE3runILj1024EEEvmPfPKS2_S5_
                                        ; -- End function
	.section	.AMDGPU.csdata,"",@progbits
; Kernel info:
; codeLenInByte = 4
; NumSgprs: 0
; NumVgprs: 0
; ScratchSize: 0
; MemoryBound: 0
; FloatMode: 240
; IeeeMode: 1
; LDSByteSize: 0 bytes/workgroup (compile time only)
; SGPRBlocks: 0
; VGPRBlocks: 0
; NumSGPRsForWavesPerEU: 1
; NumVGPRsForWavesPerEU: 1
; Occupancy: 16
; WaveLimiterHint : 0
; COMPUTE_PGM_RSRC2:SCRATCH_EN: 0
; COMPUTE_PGM_RSRC2:USER_SGPR: 15
; COMPUTE_PGM_RSRC2:TRAP_HANDLER: 0
; COMPUTE_PGM_RSRC2:TGID_X_EN: 1
; COMPUTE_PGM_RSRC2:TGID_Y_EN: 0
; COMPUTE_PGM_RSRC2:TGID_Z_EN: 0
; COMPUTE_PGM_RSRC2:TIDIG_COMP_CNT: 0
	.section	.text._ZN9rocsparse29copy_farray_mix_safe_kernel_tIf21rocsparse_complex_numIdEvE3runILj1024EEEvmPfPKS2_Pd,"axG",@progbits,_ZN9rocsparse29copy_farray_mix_safe_kernel_tIf21rocsparse_complex_numIdEvE3runILj1024EEEvmPfPKS2_Pd,comdat
	.protected	_ZN9rocsparse29copy_farray_mix_safe_kernel_tIf21rocsparse_complex_numIdEvE3runILj1024EEEvmPfPKS2_Pd ; -- Begin function _ZN9rocsparse29copy_farray_mix_safe_kernel_tIf21rocsparse_complex_numIdEvE3runILj1024EEEvmPfPKS2_Pd
	.globl	_ZN9rocsparse29copy_farray_mix_safe_kernel_tIf21rocsparse_complex_numIdEvE3runILj1024EEEvmPfPKS2_Pd
	.p2align	8
	.type	_ZN9rocsparse29copy_farray_mix_safe_kernel_tIf21rocsparse_complex_numIdEvE3runILj1024EEEvmPfPKS2_Pd,@function
_ZN9rocsparse29copy_farray_mix_safe_kernel_tIf21rocsparse_complex_numIdEvE3runILj1024EEEvmPfPKS2_Pd: ; @_ZN9rocsparse29copy_farray_mix_safe_kernel_tIf21rocsparse_complex_numIdEvE3runILj1024EEEvmPfPKS2_Pd
; %bb.0:
	s_endpgm
	.section	.rodata,"a",@progbits
	.p2align	6, 0x0
	.amdhsa_kernel _ZN9rocsparse29copy_farray_mix_safe_kernel_tIf21rocsparse_complex_numIdEvE3runILj1024EEEvmPfPKS2_Pd
		.amdhsa_group_segment_fixed_size 0
		.amdhsa_private_segment_fixed_size 0
		.amdhsa_kernarg_size 32
		.amdhsa_user_sgpr_count 15
		.amdhsa_user_sgpr_dispatch_ptr 0
		.amdhsa_user_sgpr_queue_ptr 0
		.amdhsa_user_sgpr_kernarg_segment_ptr 1
		.amdhsa_user_sgpr_dispatch_id 0
		.amdhsa_user_sgpr_private_segment_size 0
		.amdhsa_wavefront_size32 1
		.amdhsa_uses_dynamic_stack 0
		.amdhsa_enable_private_segment 0
		.amdhsa_system_sgpr_workgroup_id_x 1
		.amdhsa_system_sgpr_workgroup_id_y 0
		.amdhsa_system_sgpr_workgroup_id_z 0
		.amdhsa_system_sgpr_workgroup_info 0
		.amdhsa_system_vgpr_workitem_id 0
		.amdhsa_next_free_vgpr 1
		.amdhsa_next_free_sgpr 1
		.amdhsa_reserve_vcc 0
		.amdhsa_float_round_mode_32 0
		.amdhsa_float_round_mode_16_64 0
		.amdhsa_float_denorm_mode_32 3
		.amdhsa_float_denorm_mode_16_64 3
		.amdhsa_dx10_clamp 1
		.amdhsa_ieee_mode 1
		.amdhsa_fp16_overflow 0
		.amdhsa_workgroup_processor_mode 1
		.amdhsa_memory_ordered 1
		.amdhsa_forward_progress 0
		.amdhsa_shared_vgpr_count 0
		.amdhsa_exception_fp_ieee_invalid_op 0
		.amdhsa_exception_fp_denorm_src 0
		.amdhsa_exception_fp_ieee_div_zero 0
		.amdhsa_exception_fp_ieee_overflow 0
		.amdhsa_exception_fp_ieee_underflow 0
		.amdhsa_exception_fp_ieee_inexact 0
		.amdhsa_exception_int_div_zero 0
	.end_amdhsa_kernel
	.section	.text._ZN9rocsparse29copy_farray_mix_safe_kernel_tIf21rocsparse_complex_numIdEvE3runILj1024EEEvmPfPKS2_Pd,"axG",@progbits,_ZN9rocsparse29copy_farray_mix_safe_kernel_tIf21rocsparse_complex_numIdEvE3runILj1024EEEvmPfPKS2_Pd,comdat
.Lfunc_end77:
	.size	_ZN9rocsparse29copy_farray_mix_safe_kernel_tIf21rocsparse_complex_numIdEvE3runILj1024EEEvmPfPKS2_Pd, .Lfunc_end77-_ZN9rocsparse29copy_farray_mix_safe_kernel_tIf21rocsparse_complex_numIdEvE3runILj1024EEEvmPfPKS2_Pd
                                        ; -- End function
	.section	.AMDGPU.csdata,"",@progbits
; Kernel info:
; codeLenInByte = 4
; NumSgprs: 0
; NumVgprs: 0
; ScratchSize: 0
; MemoryBound: 0
; FloatMode: 240
; IeeeMode: 1
; LDSByteSize: 0 bytes/workgroup (compile time only)
; SGPRBlocks: 0
; VGPRBlocks: 0
; NumSGPRsForWavesPerEU: 1
; NumVGPRsForWavesPerEU: 1
; Occupancy: 16
; WaveLimiterHint : 0
; COMPUTE_PGM_RSRC2:SCRATCH_EN: 0
; COMPUTE_PGM_RSRC2:USER_SGPR: 15
; COMPUTE_PGM_RSRC2:TRAP_HANDLER: 0
; COMPUTE_PGM_RSRC2:TGID_X_EN: 1
; COMPUTE_PGM_RSRC2:TGID_Y_EN: 0
; COMPUTE_PGM_RSRC2:TGID_Z_EN: 0
; COMPUTE_PGM_RSRC2:TIDIG_COMP_CNT: 0
	.section	.text._ZN9rocsparse29copy_farray_mix_safe_kernel_tIdavE3runILj1024EEEvmPdPKaPa,"axG",@progbits,_ZN9rocsparse29copy_farray_mix_safe_kernel_tIdavE3runILj1024EEEvmPdPKaPa,comdat
	.protected	_ZN9rocsparse29copy_farray_mix_safe_kernel_tIdavE3runILj1024EEEvmPdPKaPa ; -- Begin function _ZN9rocsparse29copy_farray_mix_safe_kernel_tIdavE3runILj1024EEEvmPdPKaPa
	.globl	_ZN9rocsparse29copy_farray_mix_safe_kernel_tIdavE3runILj1024EEEvmPdPKaPa
	.p2align	8
	.type	_ZN9rocsparse29copy_farray_mix_safe_kernel_tIdavE3runILj1024EEEvmPdPKaPa,@function
_ZN9rocsparse29copy_farray_mix_safe_kernel_tIdavE3runILj1024EEEvmPdPKaPa: ; @_ZN9rocsparse29copy_farray_mix_safe_kernel_tIdavE3runILj1024EEEvmPdPKaPa
; %bb.0:
	s_endpgm
	.section	.rodata,"a",@progbits
	.p2align	6, 0x0
	.amdhsa_kernel _ZN9rocsparse29copy_farray_mix_safe_kernel_tIdavE3runILj1024EEEvmPdPKaPa
		.amdhsa_group_segment_fixed_size 0
		.amdhsa_private_segment_fixed_size 0
		.amdhsa_kernarg_size 32
		.amdhsa_user_sgpr_count 15
		.amdhsa_user_sgpr_dispatch_ptr 0
		.amdhsa_user_sgpr_queue_ptr 0
		.amdhsa_user_sgpr_kernarg_segment_ptr 1
		.amdhsa_user_sgpr_dispatch_id 0
		.amdhsa_user_sgpr_private_segment_size 0
		.amdhsa_wavefront_size32 1
		.amdhsa_uses_dynamic_stack 0
		.amdhsa_enable_private_segment 0
		.amdhsa_system_sgpr_workgroup_id_x 1
		.amdhsa_system_sgpr_workgroup_id_y 0
		.amdhsa_system_sgpr_workgroup_id_z 0
		.amdhsa_system_sgpr_workgroup_info 0
		.amdhsa_system_vgpr_workitem_id 0
		.amdhsa_next_free_vgpr 1
		.amdhsa_next_free_sgpr 1
		.amdhsa_reserve_vcc 0
		.amdhsa_float_round_mode_32 0
		.amdhsa_float_round_mode_16_64 0
		.amdhsa_float_denorm_mode_32 3
		.amdhsa_float_denorm_mode_16_64 3
		.amdhsa_dx10_clamp 1
		.amdhsa_ieee_mode 1
		.amdhsa_fp16_overflow 0
		.amdhsa_workgroup_processor_mode 1
		.amdhsa_memory_ordered 1
		.amdhsa_forward_progress 0
		.amdhsa_shared_vgpr_count 0
		.amdhsa_exception_fp_ieee_invalid_op 0
		.amdhsa_exception_fp_denorm_src 0
		.amdhsa_exception_fp_ieee_div_zero 0
		.amdhsa_exception_fp_ieee_overflow 0
		.amdhsa_exception_fp_ieee_underflow 0
		.amdhsa_exception_fp_ieee_inexact 0
		.amdhsa_exception_int_div_zero 0
	.end_amdhsa_kernel
	.section	.text._ZN9rocsparse29copy_farray_mix_safe_kernel_tIdavE3runILj1024EEEvmPdPKaPa,"axG",@progbits,_ZN9rocsparse29copy_farray_mix_safe_kernel_tIdavE3runILj1024EEEvmPdPKaPa,comdat
.Lfunc_end78:
	.size	_ZN9rocsparse29copy_farray_mix_safe_kernel_tIdavE3runILj1024EEEvmPdPKaPa, .Lfunc_end78-_ZN9rocsparse29copy_farray_mix_safe_kernel_tIdavE3runILj1024EEEvmPdPKaPa
                                        ; -- End function
	.section	.AMDGPU.csdata,"",@progbits
; Kernel info:
; codeLenInByte = 4
; NumSgprs: 0
; NumVgprs: 0
; ScratchSize: 0
; MemoryBound: 0
; FloatMode: 240
; IeeeMode: 1
; LDSByteSize: 0 bytes/workgroup (compile time only)
; SGPRBlocks: 0
; VGPRBlocks: 0
; NumSGPRsForWavesPerEU: 1
; NumVGPRsForWavesPerEU: 1
; Occupancy: 16
; WaveLimiterHint : 0
; COMPUTE_PGM_RSRC2:SCRATCH_EN: 0
; COMPUTE_PGM_RSRC2:USER_SGPR: 15
; COMPUTE_PGM_RSRC2:TRAP_HANDLER: 0
; COMPUTE_PGM_RSRC2:TGID_X_EN: 1
; COMPUTE_PGM_RSRC2:TGID_Y_EN: 0
; COMPUTE_PGM_RSRC2:TGID_Z_EN: 0
; COMPUTE_PGM_RSRC2:TIDIG_COMP_CNT: 0
	.section	.text._ZN9rocsparse29copy_farray_mix_safe_kernel_tIdhvE3runILj1024EEEvmPdPKhPh,"axG",@progbits,_ZN9rocsparse29copy_farray_mix_safe_kernel_tIdhvE3runILj1024EEEvmPdPKhPh,comdat
	.protected	_ZN9rocsparse29copy_farray_mix_safe_kernel_tIdhvE3runILj1024EEEvmPdPKhPh ; -- Begin function _ZN9rocsparse29copy_farray_mix_safe_kernel_tIdhvE3runILj1024EEEvmPdPKhPh
	.globl	_ZN9rocsparse29copy_farray_mix_safe_kernel_tIdhvE3runILj1024EEEvmPdPKhPh
	.p2align	8
	.type	_ZN9rocsparse29copy_farray_mix_safe_kernel_tIdhvE3runILj1024EEEvmPdPKhPh,@function
_ZN9rocsparse29copy_farray_mix_safe_kernel_tIdhvE3runILj1024EEEvmPdPKhPh: ; @_ZN9rocsparse29copy_farray_mix_safe_kernel_tIdhvE3runILj1024EEEvmPdPKhPh
; %bb.0:
	s_endpgm
	.section	.rodata,"a",@progbits
	.p2align	6, 0x0
	.amdhsa_kernel _ZN9rocsparse29copy_farray_mix_safe_kernel_tIdhvE3runILj1024EEEvmPdPKhPh
		.amdhsa_group_segment_fixed_size 0
		.amdhsa_private_segment_fixed_size 0
		.amdhsa_kernarg_size 32
		.amdhsa_user_sgpr_count 15
		.amdhsa_user_sgpr_dispatch_ptr 0
		.amdhsa_user_sgpr_queue_ptr 0
		.amdhsa_user_sgpr_kernarg_segment_ptr 1
		.amdhsa_user_sgpr_dispatch_id 0
		.amdhsa_user_sgpr_private_segment_size 0
		.amdhsa_wavefront_size32 1
		.amdhsa_uses_dynamic_stack 0
		.amdhsa_enable_private_segment 0
		.amdhsa_system_sgpr_workgroup_id_x 1
		.amdhsa_system_sgpr_workgroup_id_y 0
		.amdhsa_system_sgpr_workgroup_id_z 0
		.amdhsa_system_sgpr_workgroup_info 0
		.amdhsa_system_vgpr_workitem_id 0
		.amdhsa_next_free_vgpr 1
		.amdhsa_next_free_sgpr 1
		.amdhsa_reserve_vcc 0
		.amdhsa_float_round_mode_32 0
		.amdhsa_float_round_mode_16_64 0
		.amdhsa_float_denorm_mode_32 3
		.amdhsa_float_denorm_mode_16_64 3
		.amdhsa_dx10_clamp 1
		.amdhsa_ieee_mode 1
		.amdhsa_fp16_overflow 0
		.amdhsa_workgroup_processor_mode 1
		.amdhsa_memory_ordered 1
		.amdhsa_forward_progress 0
		.amdhsa_shared_vgpr_count 0
		.amdhsa_exception_fp_ieee_invalid_op 0
		.amdhsa_exception_fp_denorm_src 0
		.amdhsa_exception_fp_ieee_div_zero 0
		.amdhsa_exception_fp_ieee_overflow 0
		.amdhsa_exception_fp_ieee_underflow 0
		.amdhsa_exception_fp_ieee_inexact 0
		.amdhsa_exception_int_div_zero 0
	.end_amdhsa_kernel
	.section	.text._ZN9rocsparse29copy_farray_mix_safe_kernel_tIdhvE3runILj1024EEEvmPdPKhPh,"axG",@progbits,_ZN9rocsparse29copy_farray_mix_safe_kernel_tIdhvE3runILj1024EEEvmPdPKhPh,comdat
.Lfunc_end79:
	.size	_ZN9rocsparse29copy_farray_mix_safe_kernel_tIdhvE3runILj1024EEEvmPdPKhPh, .Lfunc_end79-_ZN9rocsparse29copy_farray_mix_safe_kernel_tIdhvE3runILj1024EEEvmPdPKhPh
                                        ; -- End function
	.section	.AMDGPU.csdata,"",@progbits
; Kernel info:
; codeLenInByte = 4
; NumSgprs: 0
; NumVgprs: 0
; ScratchSize: 0
; MemoryBound: 0
; FloatMode: 240
; IeeeMode: 1
; LDSByteSize: 0 bytes/workgroup (compile time only)
; SGPRBlocks: 0
; VGPRBlocks: 0
; NumSGPRsForWavesPerEU: 1
; NumVGPRsForWavesPerEU: 1
; Occupancy: 16
; WaveLimiterHint : 0
; COMPUTE_PGM_RSRC2:SCRATCH_EN: 0
; COMPUTE_PGM_RSRC2:USER_SGPR: 15
; COMPUTE_PGM_RSRC2:TRAP_HANDLER: 0
; COMPUTE_PGM_RSRC2:TGID_X_EN: 1
; COMPUTE_PGM_RSRC2:TGID_Y_EN: 0
; COMPUTE_PGM_RSRC2:TGID_Z_EN: 0
; COMPUTE_PGM_RSRC2:TIDIG_COMP_CNT: 0
	.section	.text._ZN9rocsparse29copy_farray_mix_safe_kernel_tIdivE3runILj1024EEEvmPdPKiPi,"axG",@progbits,_ZN9rocsparse29copy_farray_mix_safe_kernel_tIdivE3runILj1024EEEvmPdPKiPi,comdat
	.protected	_ZN9rocsparse29copy_farray_mix_safe_kernel_tIdivE3runILj1024EEEvmPdPKiPi ; -- Begin function _ZN9rocsparse29copy_farray_mix_safe_kernel_tIdivE3runILj1024EEEvmPdPKiPi
	.globl	_ZN9rocsparse29copy_farray_mix_safe_kernel_tIdivE3runILj1024EEEvmPdPKiPi
	.p2align	8
	.type	_ZN9rocsparse29copy_farray_mix_safe_kernel_tIdivE3runILj1024EEEvmPdPKiPi,@function
_ZN9rocsparse29copy_farray_mix_safe_kernel_tIdivE3runILj1024EEEvmPdPKiPi: ; @_ZN9rocsparse29copy_farray_mix_safe_kernel_tIdivE3runILj1024EEEvmPdPKiPi
; %bb.0:
	s_endpgm
	.section	.rodata,"a",@progbits
	.p2align	6, 0x0
	.amdhsa_kernel _ZN9rocsparse29copy_farray_mix_safe_kernel_tIdivE3runILj1024EEEvmPdPKiPi
		.amdhsa_group_segment_fixed_size 0
		.amdhsa_private_segment_fixed_size 0
		.amdhsa_kernarg_size 32
		.amdhsa_user_sgpr_count 15
		.amdhsa_user_sgpr_dispatch_ptr 0
		.amdhsa_user_sgpr_queue_ptr 0
		.amdhsa_user_sgpr_kernarg_segment_ptr 1
		.amdhsa_user_sgpr_dispatch_id 0
		.amdhsa_user_sgpr_private_segment_size 0
		.amdhsa_wavefront_size32 1
		.amdhsa_uses_dynamic_stack 0
		.amdhsa_enable_private_segment 0
		.amdhsa_system_sgpr_workgroup_id_x 1
		.amdhsa_system_sgpr_workgroup_id_y 0
		.amdhsa_system_sgpr_workgroup_id_z 0
		.amdhsa_system_sgpr_workgroup_info 0
		.amdhsa_system_vgpr_workitem_id 0
		.amdhsa_next_free_vgpr 1
		.amdhsa_next_free_sgpr 1
		.amdhsa_reserve_vcc 0
		.amdhsa_float_round_mode_32 0
		.amdhsa_float_round_mode_16_64 0
		.amdhsa_float_denorm_mode_32 3
		.amdhsa_float_denorm_mode_16_64 3
		.amdhsa_dx10_clamp 1
		.amdhsa_ieee_mode 1
		.amdhsa_fp16_overflow 0
		.amdhsa_workgroup_processor_mode 1
		.amdhsa_memory_ordered 1
		.amdhsa_forward_progress 0
		.amdhsa_shared_vgpr_count 0
		.amdhsa_exception_fp_ieee_invalid_op 0
		.amdhsa_exception_fp_denorm_src 0
		.amdhsa_exception_fp_ieee_div_zero 0
		.amdhsa_exception_fp_ieee_overflow 0
		.amdhsa_exception_fp_ieee_underflow 0
		.amdhsa_exception_fp_ieee_inexact 0
		.amdhsa_exception_int_div_zero 0
	.end_amdhsa_kernel
	.section	.text._ZN9rocsparse29copy_farray_mix_safe_kernel_tIdivE3runILj1024EEEvmPdPKiPi,"axG",@progbits,_ZN9rocsparse29copy_farray_mix_safe_kernel_tIdivE3runILj1024EEEvmPdPKiPi,comdat
.Lfunc_end80:
	.size	_ZN9rocsparse29copy_farray_mix_safe_kernel_tIdivE3runILj1024EEEvmPdPKiPi, .Lfunc_end80-_ZN9rocsparse29copy_farray_mix_safe_kernel_tIdivE3runILj1024EEEvmPdPKiPi
                                        ; -- End function
	.section	.AMDGPU.csdata,"",@progbits
; Kernel info:
; codeLenInByte = 4
; NumSgprs: 0
; NumVgprs: 0
; ScratchSize: 0
; MemoryBound: 0
; FloatMode: 240
; IeeeMode: 1
; LDSByteSize: 0 bytes/workgroup (compile time only)
; SGPRBlocks: 0
; VGPRBlocks: 0
; NumSGPRsForWavesPerEU: 1
; NumVGPRsForWavesPerEU: 1
; Occupancy: 16
; WaveLimiterHint : 0
; COMPUTE_PGM_RSRC2:SCRATCH_EN: 0
; COMPUTE_PGM_RSRC2:USER_SGPR: 15
; COMPUTE_PGM_RSRC2:TRAP_HANDLER: 0
; COMPUTE_PGM_RSRC2:TGID_X_EN: 1
; COMPUTE_PGM_RSRC2:TGID_Y_EN: 0
; COMPUTE_PGM_RSRC2:TGID_Z_EN: 0
; COMPUTE_PGM_RSRC2:TIDIG_COMP_CNT: 0
	.section	.text._ZN9rocsparse29copy_farray_mix_safe_kernel_tIdjvE3runILj1024EEEvmPdPKjPj,"axG",@progbits,_ZN9rocsparse29copy_farray_mix_safe_kernel_tIdjvE3runILj1024EEEvmPdPKjPj,comdat
	.protected	_ZN9rocsparse29copy_farray_mix_safe_kernel_tIdjvE3runILj1024EEEvmPdPKjPj ; -- Begin function _ZN9rocsparse29copy_farray_mix_safe_kernel_tIdjvE3runILj1024EEEvmPdPKjPj
	.globl	_ZN9rocsparse29copy_farray_mix_safe_kernel_tIdjvE3runILj1024EEEvmPdPKjPj
	.p2align	8
	.type	_ZN9rocsparse29copy_farray_mix_safe_kernel_tIdjvE3runILj1024EEEvmPdPKjPj,@function
_ZN9rocsparse29copy_farray_mix_safe_kernel_tIdjvE3runILj1024EEEvmPdPKjPj: ; @_ZN9rocsparse29copy_farray_mix_safe_kernel_tIdjvE3runILj1024EEEvmPdPKjPj
; %bb.0:
	s_endpgm
	.section	.rodata,"a",@progbits
	.p2align	6, 0x0
	.amdhsa_kernel _ZN9rocsparse29copy_farray_mix_safe_kernel_tIdjvE3runILj1024EEEvmPdPKjPj
		.amdhsa_group_segment_fixed_size 0
		.amdhsa_private_segment_fixed_size 0
		.amdhsa_kernarg_size 32
		.amdhsa_user_sgpr_count 15
		.amdhsa_user_sgpr_dispatch_ptr 0
		.amdhsa_user_sgpr_queue_ptr 0
		.amdhsa_user_sgpr_kernarg_segment_ptr 1
		.amdhsa_user_sgpr_dispatch_id 0
		.amdhsa_user_sgpr_private_segment_size 0
		.amdhsa_wavefront_size32 1
		.amdhsa_uses_dynamic_stack 0
		.amdhsa_enable_private_segment 0
		.amdhsa_system_sgpr_workgroup_id_x 1
		.amdhsa_system_sgpr_workgroup_id_y 0
		.amdhsa_system_sgpr_workgroup_id_z 0
		.amdhsa_system_sgpr_workgroup_info 0
		.amdhsa_system_vgpr_workitem_id 0
		.amdhsa_next_free_vgpr 1
		.amdhsa_next_free_sgpr 1
		.amdhsa_reserve_vcc 0
		.amdhsa_float_round_mode_32 0
		.amdhsa_float_round_mode_16_64 0
		.amdhsa_float_denorm_mode_32 3
		.amdhsa_float_denorm_mode_16_64 3
		.amdhsa_dx10_clamp 1
		.amdhsa_ieee_mode 1
		.amdhsa_fp16_overflow 0
		.amdhsa_workgroup_processor_mode 1
		.amdhsa_memory_ordered 1
		.amdhsa_forward_progress 0
		.amdhsa_shared_vgpr_count 0
		.amdhsa_exception_fp_ieee_invalid_op 0
		.amdhsa_exception_fp_denorm_src 0
		.amdhsa_exception_fp_ieee_div_zero 0
		.amdhsa_exception_fp_ieee_overflow 0
		.amdhsa_exception_fp_ieee_underflow 0
		.amdhsa_exception_fp_ieee_inexact 0
		.amdhsa_exception_int_div_zero 0
	.end_amdhsa_kernel
	.section	.text._ZN9rocsparse29copy_farray_mix_safe_kernel_tIdjvE3runILj1024EEEvmPdPKjPj,"axG",@progbits,_ZN9rocsparse29copy_farray_mix_safe_kernel_tIdjvE3runILj1024EEEvmPdPKjPj,comdat
.Lfunc_end81:
	.size	_ZN9rocsparse29copy_farray_mix_safe_kernel_tIdjvE3runILj1024EEEvmPdPKjPj, .Lfunc_end81-_ZN9rocsparse29copy_farray_mix_safe_kernel_tIdjvE3runILj1024EEEvmPdPKjPj
                                        ; -- End function
	.section	.AMDGPU.csdata,"",@progbits
; Kernel info:
; codeLenInByte = 4
; NumSgprs: 0
; NumVgprs: 0
; ScratchSize: 0
; MemoryBound: 0
; FloatMode: 240
; IeeeMode: 1
; LDSByteSize: 0 bytes/workgroup (compile time only)
; SGPRBlocks: 0
; VGPRBlocks: 0
; NumSGPRsForWavesPerEU: 1
; NumVGPRsForWavesPerEU: 1
; Occupancy: 16
; WaveLimiterHint : 0
; COMPUTE_PGM_RSRC2:SCRATCH_EN: 0
; COMPUTE_PGM_RSRC2:USER_SGPR: 15
; COMPUTE_PGM_RSRC2:TRAP_HANDLER: 0
; COMPUTE_PGM_RSRC2:TGID_X_EN: 1
; COMPUTE_PGM_RSRC2:TGID_Y_EN: 0
; COMPUTE_PGM_RSRC2:TGID_Z_EN: 0
; COMPUTE_PGM_RSRC2:TIDIG_COMP_CNT: 0
	.section	.text._ZN9rocsparse29copy_farray_mix_safe_kernel_tIdDF16_vE3runILj1024EEEvmPdPKDF16_PDF16_,"axG",@progbits,_ZN9rocsparse29copy_farray_mix_safe_kernel_tIdDF16_vE3runILj1024EEEvmPdPKDF16_PDF16_,comdat
	.protected	_ZN9rocsparse29copy_farray_mix_safe_kernel_tIdDF16_vE3runILj1024EEEvmPdPKDF16_PDF16_ ; -- Begin function _ZN9rocsparse29copy_farray_mix_safe_kernel_tIdDF16_vE3runILj1024EEEvmPdPKDF16_PDF16_
	.globl	_ZN9rocsparse29copy_farray_mix_safe_kernel_tIdDF16_vE3runILj1024EEEvmPdPKDF16_PDF16_
	.p2align	8
	.type	_ZN9rocsparse29copy_farray_mix_safe_kernel_tIdDF16_vE3runILj1024EEEvmPdPKDF16_PDF16_,@function
_ZN9rocsparse29copy_farray_mix_safe_kernel_tIdDF16_vE3runILj1024EEEvmPdPKDF16_PDF16_: ; @_ZN9rocsparse29copy_farray_mix_safe_kernel_tIdDF16_vE3runILj1024EEEvmPdPKDF16_PDF16_
; %bb.0:
	s_endpgm
	.section	.rodata,"a",@progbits
	.p2align	6, 0x0
	.amdhsa_kernel _ZN9rocsparse29copy_farray_mix_safe_kernel_tIdDF16_vE3runILj1024EEEvmPdPKDF16_PDF16_
		.amdhsa_group_segment_fixed_size 0
		.amdhsa_private_segment_fixed_size 0
		.amdhsa_kernarg_size 32
		.amdhsa_user_sgpr_count 15
		.amdhsa_user_sgpr_dispatch_ptr 0
		.amdhsa_user_sgpr_queue_ptr 0
		.amdhsa_user_sgpr_kernarg_segment_ptr 1
		.amdhsa_user_sgpr_dispatch_id 0
		.amdhsa_user_sgpr_private_segment_size 0
		.amdhsa_wavefront_size32 1
		.amdhsa_uses_dynamic_stack 0
		.amdhsa_enable_private_segment 0
		.amdhsa_system_sgpr_workgroup_id_x 1
		.amdhsa_system_sgpr_workgroup_id_y 0
		.amdhsa_system_sgpr_workgroup_id_z 0
		.amdhsa_system_sgpr_workgroup_info 0
		.amdhsa_system_vgpr_workitem_id 0
		.amdhsa_next_free_vgpr 1
		.amdhsa_next_free_sgpr 1
		.amdhsa_reserve_vcc 0
		.amdhsa_float_round_mode_32 0
		.amdhsa_float_round_mode_16_64 0
		.amdhsa_float_denorm_mode_32 3
		.amdhsa_float_denorm_mode_16_64 3
		.amdhsa_dx10_clamp 1
		.amdhsa_ieee_mode 1
		.amdhsa_fp16_overflow 0
		.amdhsa_workgroup_processor_mode 1
		.amdhsa_memory_ordered 1
		.amdhsa_forward_progress 0
		.amdhsa_shared_vgpr_count 0
		.amdhsa_exception_fp_ieee_invalid_op 0
		.amdhsa_exception_fp_denorm_src 0
		.amdhsa_exception_fp_ieee_div_zero 0
		.amdhsa_exception_fp_ieee_overflow 0
		.amdhsa_exception_fp_ieee_underflow 0
		.amdhsa_exception_fp_ieee_inexact 0
		.amdhsa_exception_int_div_zero 0
	.end_amdhsa_kernel
	.section	.text._ZN9rocsparse29copy_farray_mix_safe_kernel_tIdDF16_vE3runILj1024EEEvmPdPKDF16_PDF16_,"axG",@progbits,_ZN9rocsparse29copy_farray_mix_safe_kernel_tIdDF16_vE3runILj1024EEEvmPdPKDF16_PDF16_,comdat
.Lfunc_end82:
	.size	_ZN9rocsparse29copy_farray_mix_safe_kernel_tIdDF16_vE3runILj1024EEEvmPdPKDF16_PDF16_, .Lfunc_end82-_ZN9rocsparse29copy_farray_mix_safe_kernel_tIdDF16_vE3runILj1024EEEvmPdPKDF16_PDF16_
                                        ; -- End function
	.section	.AMDGPU.csdata,"",@progbits
; Kernel info:
; codeLenInByte = 4
; NumSgprs: 0
; NumVgprs: 0
; ScratchSize: 0
; MemoryBound: 0
; FloatMode: 240
; IeeeMode: 1
; LDSByteSize: 0 bytes/workgroup (compile time only)
; SGPRBlocks: 0
; VGPRBlocks: 0
; NumSGPRsForWavesPerEU: 1
; NumVGPRsForWavesPerEU: 1
; Occupancy: 16
; WaveLimiterHint : 0
; COMPUTE_PGM_RSRC2:SCRATCH_EN: 0
; COMPUTE_PGM_RSRC2:USER_SGPR: 15
; COMPUTE_PGM_RSRC2:TRAP_HANDLER: 0
; COMPUTE_PGM_RSRC2:TGID_X_EN: 1
; COMPUTE_PGM_RSRC2:TGID_Y_EN: 0
; COMPUTE_PGM_RSRC2:TGID_Z_EN: 0
; COMPUTE_PGM_RSRC2:TIDIG_COMP_CNT: 0
	.section	.text._ZN9rocsparse29copy_farray_mix_safe_kernel_tId18rocsparse_bfloat16vE3runILj1024EEEvmPdPKS1_PS1_,"axG",@progbits,_ZN9rocsparse29copy_farray_mix_safe_kernel_tId18rocsparse_bfloat16vE3runILj1024EEEvmPdPKS1_PS1_,comdat
	.protected	_ZN9rocsparse29copy_farray_mix_safe_kernel_tId18rocsparse_bfloat16vE3runILj1024EEEvmPdPKS1_PS1_ ; -- Begin function _ZN9rocsparse29copy_farray_mix_safe_kernel_tId18rocsparse_bfloat16vE3runILj1024EEEvmPdPKS1_PS1_
	.globl	_ZN9rocsparse29copy_farray_mix_safe_kernel_tId18rocsparse_bfloat16vE3runILj1024EEEvmPdPKS1_PS1_
	.p2align	8
	.type	_ZN9rocsparse29copy_farray_mix_safe_kernel_tId18rocsparse_bfloat16vE3runILj1024EEEvmPdPKS1_PS1_,@function
_ZN9rocsparse29copy_farray_mix_safe_kernel_tId18rocsparse_bfloat16vE3runILj1024EEEvmPdPKS1_PS1_: ; @_ZN9rocsparse29copy_farray_mix_safe_kernel_tId18rocsparse_bfloat16vE3runILj1024EEEvmPdPKS1_PS1_
; %bb.0:
	s_endpgm
	.section	.rodata,"a",@progbits
	.p2align	6, 0x0
	.amdhsa_kernel _ZN9rocsparse29copy_farray_mix_safe_kernel_tId18rocsparse_bfloat16vE3runILj1024EEEvmPdPKS1_PS1_
		.amdhsa_group_segment_fixed_size 0
		.amdhsa_private_segment_fixed_size 0
		.amdhsa_kernarg_size 32
		.amdhsa_user_sgpr_count 15
		.amdhsa_user_sgpr_dispatch_ptr 0
		.amdhsa_user_sgpr_queue_ptr 0
		.amdhsa_user_sgpr_kernarg_segment_ptr 1
		.amdhsa_user_sgpr_dispatch_id 0
		.amdhsa_user_sgpr_private_segment_size 0
		.amdhsa_wavefront_size32 1
		.amdhsa_uses_dynamic_stack 0
		.amdhsa_enable_private_segment 0
		.amdhsa_system_sgpr_workgroup_id_x 1
		.amdhsa_system_sgpr_workgroup_id_y 0
		.amdhsa_system_sgpr_workgroup_id_z 0
		.amdhsa_system_sgpr_workgroup_info 0
		.amdhsa_system_vgpr_workitem_id 0
		.amdhsa_next_free_vgpr 1
		.amdhsa_next_free_sgpr 1
		.amdhsa_reserve_vcc 0
		.amdhsa_float_round_mode_32 0
		.amdhsa_float_round_mode_16_64 0
		.amdhsa_float_denorm_mode_32 3
		.amdhsa_float_denorm_mode_16_64 3
		.amdhsa_dx10_clamp 1
		.amdhsa_ieee_mode 1
		.amdhsa_fp16_overflow 0
		.amdhsa_workgroup_processor_mode 1
		.amdhsa_memory_ordered 1
		.amdhsa_forward_progress 0
		.amdhsa_shared_vgpr_count 0
		.amdhsa_exception_fp_ieee_invalid_op 0
		.amdhsa_exception_fp_denorm_src 0
		.amdhsa_exception_fp_ieee_div_zero 0
		.amdhsa_exception_fp_ieee_overflow 0
		.amdhsa_exception_fp_ieee_underflow 0
		.amdhsa_exception_fp_ieee_inexact 0
		.amdhsa_exception_int_div_zero 0
	.end_amdhsa_kernel
	.section	.text._ZN9rocsparse29copy_farray_mix_safe_kernel_tId18rocsparse_bfloat16vE3runILj1024EEEvmPdPKS1_PS1_,"axG",@progbits,_ZN9rocsparse29copy_farray_mix_safe_kernel_tId18rocsparse_bfloat16vE3runILj1024EEEvmPdPKS1_PS1_,comdat
.Lfunc_end83:
	.size	_ZN9rocsparse29copy_farray_mix_safe_kernel_tId18rocsparse_bfloat16vE3runILj1024EEEvmPdPKS1_PS1_, .Lfunc_end83-_ZN9rocsparse29copy_farray_mix_safe_kernel_tId18rocsparse_bfloat16vE3runILj1024EEEvmPdPKS1_PS1_
                                        ; -- End function
	.section	.AMDGPU.csdata,"",@progbits
; Kernel info:
; codeLenInByte = 4
; NumSgprs: 0
; NumVgprs: 0
; ScratchSize: 0
; MemoryBound: 0
; FloatMode: 240
; IeeeMode: 1
; LDSByteSize: 0 bytes/workgroup (compile time only)
; SGPRBlocks: 0
; VGPRBlocks: 0
; NumSGPRsForWavesPerEU: 1
; NumVGPRsForWavesPerEU: 1
; Occupancy: 16
; WaveLimiterHint : 0
; COMPUTE_PGM_RSRC2:SCRATCH_EN: 0
; COMPUTE_PGM_RSRC2:USER_SGPR: 15
; COMPUTE_PGM_RSRC2:TRAP_HANDLER: 0
; COMPUTE_PGM_RSRC2:TGID_X_EN: 1
; COMPUTE_PGM_RSRC2:TGID_Y_EN: 0
; COMPUTE_PGM_RSRC2:TGID_Z_EN: 0
; COMPUTE_PGM_RSRC2:TIDIG_COMP_CNT: 0
	.section	.text._ZN9rocsparse29copy_farray_mix_safe_kernel_tIdfvE3runILj1024EEEvmPdPKfPf,"axG",@progbits,_ZN9rocsparse29copy_farray_mix_safe_kernel_tIdfvE3runILj1024EEEvmPdPKfPf,comdat
	.protected	_ZN9rocsparse29copy_farray_mix_safe_kernel_tIdfvE3runILj1024EEEvmPdPKfPf ; -- Begin function _ZN9rocsparse29copy_farray_mix_safe_kernel_tIdfvE3runILj1024EEEvmPdPKfPf
	.globl	_ZN9rocsparse29copy_farray_mix_safe_kernel_tIdfvE3runILj1024EEEvmPdPKfPf
	.p2align	8
	.type	_ZN9rocsparse29copy_farray_mix_safe_kernel_tIdfvE3runILj1024EEEvmPdPKfPf,@function
_ZN9rocsparse29copy_farray_mix_safe_kernel_tIdfvE3runILj1024EEEvmPdPKfPf: ; @_ZN9rocsparse29copy_farray_mix_safe_kernel_tIdfvE3runILj1024EEEvmPdPKfPf
; %bb.0:
	s_load_b128 s[4:7], s[0:1], 0x0
	v_lshl_or_b32 v0, s15, 10, v0
	v_mov_b32_e32 v1, 0
	s_mov_b32 s2, exec_lo
	s_waitcnt lgkmcnt(0)
	s_delay_alu instid0(VALU_DEP_1)
	v_cmpx_gt_u64_e64 s[4:5], v[0:1]
	s_cbranch_execz .LBB84_2
; %bb.1:
	s_load_b64 s[0:1], s[0:1], 0x10
	v_lshlrev_b64 v[2:3], 2, v[0:1]
	v_lshlrev_b64 v[0:1], 3, v[0:1]
	s_waitcnt lgkmcnt(0)
	s_delay_alu instid0(VALU_DEP_2) | instskip(NEXT) | instid1(VALU_DEP_3)
	v_add_co_u32 v2, vcc_lo, s0, v2
	v_add_co_ci_u32_e32 v3, vcc_lo, s1, v3, vcc_lo
	s_delay_alu instid0(VALU_DEP_3) | instskip(NEXT) | instid1(VALU_DEP_4)
	v_add_co_u32 v0, vcc_lo, s6, v0
	v_add_co_ci_u32_e32 v1, vcc_lo, s7, v1, vcc_lo
	global_load_b32 v2, v[2:3], off
	s_waitcnt vmcnt(0)
	v_cvt_f64_f32_e32 v[2:3], v2
	global_store_b64 v[0:1], v[2:3], off
.LBB84_2:
	s_nop 0
	s_sendmsg sendmsg(MSG_DEALLOC_VGPRS)
	s_endpgm
	.section	.rodata,"a",@progbits
	.p2align	6, 0x0
	.amdhsa_kernel _ZN9rocsparse29copy_farray_mix_safe_kernel_tIdfvE3runILj1024EEEvmPdPKfPf
		.amdhsa_group_segment_fixed_size 0
		.amdhsa_private_segment_fixed_size 0
		.amdhsa_kernarg_size 32
		.amdhsa_user_sgpr_count 15
		.amdhsa_user_sgpr_dispatch_ptr 0
		.amdhsa_user_sgpr_queue_ptr 0
		.amdhsa_user_sgpr_kernarg_segment_ptr 1
		.amdhsa_user_sgpr_dispatch_id 0
		.amdhsa_user_sgpr_private_segment_size 0
		.amdhsa_wavefront_size32 1
		.amdhsa_uses_dynamic_stack 0
		.amdhsa_enable_private_segment 0
		.amdhsa_system_sgpr_workgroup_id_x 1
		.amdhsa_system_sgpr_workgroup_id_y 0
		.amdhsa_system_sgpr_workgroup_id_z 0
		.amdhsa_system_sgpr_workgroup_info 0
		.amdhsa_system_vgpr_workitem_id 0
		.amdhsa_next_free_vgpr 4
		.amdhsa_next_free_sgpr 16
		.amdhsa_reserve_vcc 1
		.amdhsa_float_round_mode_32 0
		.amdhsa_float_round_mode_16_64 0
		.amdhsa_float_denorm_mode_32 3
		.amdhsa_float_denorm_mode_16_64 3
		.amdhsa_dx10_clamp 1
		.amdhsa_ieee_mode 1
		.amdhsa_fp16_overflow 0
		.amdhsa_workgroup_processor_mode 1
		.amdhsa_memory_ordered 1
		.amdhsa_forward_progress 0
		.amdhsa_shared_vgpr_count 0
		.amdhsa_exception_fp_ieee_invalid_op 0
		.amdhsa_exception_fp_denorm_src 0
		.amdhsa_exception_fp_ieee_div_zero 0
		.amdhsa_exception_fp_ieee_overflow 0
		.amdhsa_exception_fp_ieee_underflow 0
		.amdhsa_exception_fp_ieee_inexact 0
		.amdhsa_exception_int_div_zero 0
	.end_amdhsa_kernel
	.section	.text._ZN9rocsparse29copy_farray_mix_safe_kernel_tIdfvE3runILj1024EEEvmPdPKfPf,"axG",@progbits,_ZN9rocsparse29copy_farray_mix_safe_kernel_tIdfvE3runILj1024EEEvmPdPKfPf,comdat
.Lfunc_end84:
	.size	_ZN9rocsparse29copy_farray_mix_safe_kernel_tIdfvE3runILj1024EEEvmPdPKfPf, .Lfunc_end84-_ZN9rocsparse29copy_farray_mix_safe_kernel_tIdfvE3runILj1024EEEvmPdPKfPf
                                        ; -- End function
	.section	.AMDGPU.csdata,"",@progbits
; Kernel info:
; codeLenInByte = 140
; NumSgprs: 18
; NumVgprs: 4
; ScratchSize: 0
; MemoryBound: 0
; FloatMode: 240
; IeeeMode: 1
; LDSByteSize: 0 bytes/workgroup (compile time only)
; SGPRBlocks: 2
; VGPRBlocks: 0
; NumSGPRsForWavesPerEU: 18
; NumVGPRsForWavesPerEU: 4
; Occupancy: 16
; WaveLimiterHint : 0
; COMPUTE_PGM_RSRC2:SCRATCH_EN: 0
; COMPUTE_PGM_RSRC2:USER_SGPR: 15
; COMPUTE_PGM_RSRC2:TRAP_HANDLER: 0
; COMPUTE_PGM_RSRC2:TGID_X_EN: 1
; COMPUTE_PGM_RSRC2:TGID_Y_EN: 0
; COMPUTE_PGM_RSRC2:TGID_Z_EN: 0
; COMPUTE_PGM_RSRC2:TIDIG_COMP_CNT: 0
	.section	.text._ZN9rocsparse29copy_farray_mix_safe_kernel_tIddvE3runILj1024EEEvmPdPKdS3_,"axG",@progbits,_ZN9rocsparse29copy_farray_mix_safe_kernel_tIddvE3runILj1024EEEvmPdPKdS3_,comdat
	.protected	_ZN9rocsparse29copy_farray_mix_safe_kernel_tIddvE3runILj1024EEEvmPdPKdS3_ ; -- Begin function _ZN9rocsparse29copy_farray_mix_safe_kernel_tIddvE3runILj1024EEEvmPdPKdS3_
	.globl	_ZN9rocsparse29copy_farray_mix_safe_kernel_tIddvE3runILj1024EEEvmPdPKdS3_
	.p2align	8
	.type	_ZN9rocsparse29copy_farray_mix_safe_kernel_tIddvE3runILj1024EEEvmPdPKdS3_,@function
_ZN9rocsparse29copy_farray_mix_safe_kernel_tIddvE3runILj1024EEEvmPdPKdS3_: ; @_ZN9rocsparse29copy_farray_mix_safe_kernel_tIddvE3runILj1024EEEvmPdPKdS3_
; %bb.0:
	s_load_b128 s[4:7], s[0:1], 0x0
	v_lshl_or_b32 v0, s15, 10, v0
	v_mov_b32_e32 v1, 0
	s_mov_b32 s2, exec_lo
	s_waitcnt lgkmcnt(0)
	s_delay_alu instid0(VALU_DEP_1)
	v_cmpx_gt_u64_e64 s[4:5], v[0:1]
	s_cbranch_execz .LBB85_2
; %bb.1:
	s_load_b64 s[0:1], s[0:1], 0x10
	v_lshlrev_b64 v[0:1], 3, v[0:1]
	s_waitcnt lgkmcnt(0)
	s_delay_alu instid0(VALU_DEP_1) | instskip(NEXT) | instid1(VALU_DEP_2)
	v_add_co_u32 v2, vcc_lo, s0, v0
	v_add_co_ci_u32_e32 v3, vcc_lo, s1, v1, vcc_lo
	v_add_co_u32 v0, vcc_lo, s6, v0
	v_add_co_ci_u32_e32 v1, vcc_lo, s7, v1, vcc_lo
	global_load_b64 v[2:3], v[2:3], off
	s_waitcnt vmcnt(0)
	global_store_b64 v[0:1], v[2:3], off
.LBB85_2:
	s_nop 0
	s_sendmsg sendmsg(MSG_DEALLOC_VGPRS)
	s_endpgm
	.section	.rodata,"a",@progbits
	.p2align	6, 0x0
	.amdhsa_kernel _ZN9rocsparse29copy_farray_mix_safe_kernel_tIddvE3runILj1024EEEvmPdPKdS3_
		.amdhsa_group_segment_fixed_size 0
		.amdhsa_private_segment_fixed_size 0
		.amdhsa_kernarg_size 32
		.amdhsa_user_sgpr_count 15
		.amdhsa_user_sgpr_dispatch_ptr 0
		.amdhsa_user_sgpr_queue_ptr 0
		.amdhsa_user_sgpr_kernarg_segment_ptr 1
		.amdhsa_user_sgpr_dispatch_id 0
		.amdhsa_user_sgpr_private_segment_size 0
		.amdhsa_wavefront_size32 1
		.amdhsa_uses_dynamic_stack 0
		.amdhsa_enable_private_segment 0
		.amdhsa_system_sgpr_workgroup_id_x 1
		.amdhsa_system_sgpr_workgroup_id_y 0
		.amdhsa_system_sgpr_workgroup_id_z 0
		.amdhsa_system_sgpr_workgroup_info 0
		.amdhsa_system_vgpr_workitem_id 0
		.amdhsa_next_free_vgpr 4
		.amdhsa_next_free_sgpr 16
		.amdhsa_reserve_vcc 1
		.amdhsa_float_round_mode_32 0
		.amdhsa_float_round_mode_16_64 0
		.amdhsa_float_denorm_mode_32 3
		.amdhsa_float_denorm_mode_16_64 3
		.amdhsa_dx10_clamp 1
		.amdhsa_ieee_mode 1
		.amdhsa_fp16_overflow 0
		.amdhsa_workgroup_processor_mode 1
		.amdhsa_memory_ordered 1
		.amdhsa_forward_progress 0
		.amdhsa_shared_vgpr_count 0
		.amdhsa_exception_fp_ieee_invalid_op 0
		.amdhsa_exception_fp_denorm_src 0
		.amdhsa_exception_fp_ieee_div_zero 0
		.amdhsa_exception_fp_ieee_overflow 0
		.amdhsa_exception_fp_ieee_underflow 0
		.amdhsa_exception_fp_ieee_inexact 0
		.amdhsa_exception_int_div_zero 0
	.end_amdhsa_kernel
	.section	.text._ZN9rocsparse29copy_farray_mix_safe_kernel_tIddvE3runILj1024EEEvmPdPKdS3_,"axG",@progbits,_ZN9rocsparse29copy_farray_mix_safe_kernel_tIddvE3runILj1024EEEvmPdPKdS3_,comdat
.Lfunc_end85:
	.size	_ZN9rocsparse29copy_farray_mix_safe_kernel_tIddvE3runILj1024EEEvmPdPKdS3_, .Lfunc_end85-_ZN9rocsparse29copy_farray_mix_safe_kernel_tIddvE3runILj1024EEEvmPdPKdS3_
                                        ; -- End function
	.section	.AMDGPU.csdata,"",@progbits
; Kernel info:
; codeLenInByte = 124
; NumSgprs: 18
; NumVgprs: 4
; ScratchSize: 0
; MemoryBound: 0
; FloatMode: 240
; IeeeMode: 1
; LDSByteSize: 0 bytes/workgroup (compile time only)
; SGPRBlocks: 2
; VGPRBlocks: 0
; NumSGPRsForWavesPerEU: 18
; NumVGPRsForWavesPerEU: 4
; Occupancy: 16
; WaveLimiterHint : 0
; COMPUTE_PGM_RSRC2:SCRATCH_EN: 0
; COMPUTE_PGM_RSRC2:USER_SGPR: 15
; COMPUTE_PGM_RSRC2:TRAP_HANDLER: 0
; COMPUTE_PGM_RSRC2:TGID_X_EN: 1
; COMPUTE_PGM_RSRC2:TGID_Y_EN: 0
; COMPUTE_PGM_RSRC2:TGID_Z_EN: 0
; COMPUTE_PGM_RSRC2:TIDIG_COMP_CNT: 0
	.section	.text._ZN9rocsparse29copy_farray_mix_safe_kernel_tId21rocsparse_complex_numIfEvE3runILj1024EEEvmPdPKS2_Pf,"axG",@progbits,_ZN9rocsparse29copy_farray_mix_safe_kernel_tId21rocsparse_complex_numIfEvE3runILj1024EEEvmPdPKS2_Pf,comdat
	.protected	_ZN9rocsparse29copy_farray_mix_safe_kernel_tId21rocsparse_complex_numIfEvE3runILj1024EEEvmPdPKS2_Pf ; -- Begin function _ZN9rocsparse29copy_farray_mix_safe_kernel_tId21rocsparse_complex_numIfEvE3runILj1024EEEvmPdPKS2_Pf
	.globl	_ZN9rocsparse29copy_farray_mix_safe_kernel_tId21rocsparse_complex_numIfEvE3runILj1024EEEvmPdPKS2_Pf
	.p2align	8
	.type	_ZN9rocsparse29copy_farray_mix_safe_kernel_tId21rocsparse_complex_numIfEvE3runILj1024EEEvmPdPKS2_Pf,@function
_ZN9rocsparse29copy_farray_mix_safe_kernel_tId21rocsparse_complex_numIfEvE3runILj1024EEEvmPdPKS2_Pf: ; @_ZN9rocsparse29copy_farray_mix_safe_kernel_tId21rocsparse_complex_numIfEvE3runILj1024EEEvmPdPKS2_Pf
; %bb.0:
	s_endpgm
	.section	.rodata,"a",@progbits
	.p2align	6, 0x0
	.amdhsa_kernel _ZN9rocsparse29copy_farray_mix_safe_kernel_tId21rocsparse_complex_numIfEvE3runILj1024EEEvmPdPKS2_Pf
		.amdhsa_group_segment_fixed_size 0
		.amdhsa_private_segment_fixed_size 0
		.amdhsa_kernarg_size 32
		.amdhsa_user_sgpr_count 15
		.amdhsa_user_sgpr_dispatch_ptr 0
		.amdhsa_user_sgpr_queue_ptr 0
		.amdhsa_user_sgpr_kernarg_segment_ptr 1
		.amdhsa_user_sgpr_dispatch_id 0
		.amdhsa_user_sgpr_private_segment_size 0
		.amdhsa_wavefront_size32 1
		.amdhsa_uses_dynamic_stack 0
		.amdhsa_enable_private_segment 0
		.amdhsa_system_sgpr_workgroup_id_x 1
		.amdhsa_system_sgpr_workgroup_id_y 0
		.amdhsa_system_sgpr_workgroup_id_z 0
		.amdhsa_system_sgpr_workgroup_info 0
		.amdhsa_system_vgpr_workitem_id 0
		.amdhsa_next_free_vgpr 1
		.amdhsa_next_free_sgpr 1
		.amdhsa_reserve_vcc 0
		.amdhsa_float_round_mode_32 0
		.amdhsa_float_round_mode_16_64 0
		.amdhsa_float_denorm_mode_32 3
		.amdhsa_float_denorm_mode_16_64 3
		.amdhsa_dx10_clamp 1
		.amdhsa_ieee_mode 1
		.amdhsa_fp16_overflow 0
		.amdhsa_workgroup_processor_mode 1
		.amdhsa_memory_ordered 1
		.amdhsa_forward_progress 0
		.amdhsa_shared_vgpr_count 0
		.amdhsa_exception_fp_ieee_invalid_op 0
		.amdhsa_exception_fp_denorm_src 0
		.amdhsa_exception_fp_ieee_div_zero 0
		.amdhsa_exception_fp_ieee_overflow 0
		.amdhsa_exception_fp_ieee_underflow 0
		.amdhsa_exception_fp_ieee_inexact 0
		.amdhsa_exception_int_div_zero 0
	.end_amdhsa_kernel
	.section	.text._ZN9rocsparse29copy_farray_mix_safe_kernel_tId21rocsparse_complex_numIfEvE3runILj1024EEEvmPdPKS2_Pf,"axG",@progbits,_ZN9rocsparse29copy_farray_mix_safe_kernel_tId21rocsparse_complex_numIfEvE3runILj1024EEEvmPdPKS2_Pf,comdat
.Lfunc_end86:
	.size	_ZN9rocsparse29copy_farray_mix_safe_kernel_tId21rocsparse_complex_numIfEvE3runILj1024EEEvmPdPKS2_Pf, .Lfunc_end86-_ZN9rocsparse29copy_farray_mix_safe_kernel_tId21rocsparse_complex_numIfEvE3runILj1024EEEvmPdPKS2_Pf
                                        ; -- End function
	.section	.AMDGPU.csdata,"",@progbits
; Kernel info:
; codeLenInByte = 4
; NumSgprs: 0
; NumVgprs: 0
; ScratchSize: 0
; MemoryBound: 0
; FloatMode: 240
; IeeeMode: 1
; LDSByteSize: 0 bytes/workgroup (compile time only)
; SGPRBlocks: 0
; VGPRBlocks: 0
; NumSGPRsForWavesPerEU: 1
; NumVGPRsForWavesPerEU: 1
; Occupancy: 16
; WaveLimiterHint : 0
; COMPUTE_PGM_RSRC2:SCRATCH_EN: 0
; COMPUTE_PGM_RSRC2:USER_SGPR: 15
; COMPUTE_PGM_RSRC2:TRAP_HANDLER: 0
; COMPUTE_PGM_RSRC2:TGID_X_EN: 1
; COMPUTE_PGM_RSRC2:TGID_Y_EN: 0
; COMPUTE_PGM_RSRC2:TGID_Z_EN: 0
; COMPUTE_PGM_RSRC2:TIDIG_COMP_CNT: 0
	.section	.text._ZN9rocsparse29copy_farray_mix_safe_kernel_tId21rocsparse_complex_numIdEvE3runILj1024EEEvmPdPKS2_S5_,"axG",@progbits,_ZN9rocsparse29copy_farray_mix_safe_kernel_tId21rocsparse_complex_numIdEvE3runILj1024EEEvmPdPKS2_S5_,comdat
	.protected	_ZN9rocsparse29copy_farray_mix_safe_kernel_tId21rocsparse_complex_numIdEvE3runILj1024EEEvmPdPKS2_S5_ ; -- Begin function _ZN9rocsparse29copy_farray_mix_safe_kernel_tId21rocsparse_complex_numIdEvE3runILj1024EEEvmPdPKS2_S5_
	.globl	_ZN9rocsparse29copy_farray_mix_safe_kernel_tId21rocsparse_complex_numIdEvE3runILj1024EEEvmPdPKS2_S5_
	.p2align	8
	.type	_ZN9rocsparse29copy_farray_mix_safe_kernel_tId21rocsparse_complex_numIdEvE3runILj1024EEEvmPdPKS2_S5_,@function
_ZN9rocsparse29copy_farray_mix_safe_kernel_tId21rocsparse_complex_numIdEvE3runILj1024EEEvmPdPKS2_S5_: ; @_ZN9rocsparse29copy_farray_mix_safe_kernel_tId21rocsparse_complex_numIdEvE3runILj1024EEEvmPdPKS2_S5_
; %bb.0:
	s_endpgm
	.section	.rodata,"a",@progbits
	.p2align	6, 0x0
	.amdhsa_kernel _ZN9rocsparse29copy_farray_mix_safe_kernel_tId21rocsparse_complex_numIdEvE3runILj1024EEEvmPdPKS2_S5_
		.amdhsa_group_segment_fixed_size 0
		.amdhsa_private_segment_fixed_size 0
		.amdhsa_kernarg_size 32
		.amdhsa_user_sgpr_count 15
		.amdhsa_user_sgpr_dispatch_ptr 0
		.amdhsa_user_sgpr_queue_ptr 0
		.amdhsa_user_sgpr_kernarg_segment_ptr 1
		.amdhsa_user_sgpr_dispatch_id 0
		.amdhsa_user_sgpr_private_segment_size 0
		.amdhsa_wavefront_size32 1
		.amdhsa_uses_dynamic_stack 0
		.amdhsa_enable_private_segment 0
		.amdhsa_system_sgpr_workgroup_id_x 1
		.amdhsa_system_sgpr_workgroup_id_y 0
		.amdhsa_system_sgpr_workgroup_id_z 0
		.amdhsa_system_sgpr_workgroup_info 0
		.amdhsa_system_vgpr_workitem_id 0
		.amdhsa_next_free_vgpr 1
		.amdhsa_next_free_sgpr 1
		.amdhsa_reserve_vcc 0
		.amdhsa_float_round_mode_32 0
		.amdhsa_float_round_mode_16_64 0
		.amdhsa_float_denorm_mode_32 3
		.amdhsa_float_denorm_mode_16_64 3
		.amdhsa_dx10_clamp 1
		.amdhsa_ieee_mode 1
		.amdhsa_fp16_overflow 0
		.amdhsa_workgroup_processor_mode 1
		.amdhsa_memory_ordered 1
		.amdhsa_forward_progress 0
		.amdhsa_shared_vgpr_count 0
		.amdhsa_exception_fp_ieee_invalid_op 0
		.amdhsa_exception_fp_denorm_src 0
		.amdhsa_exception_fp_ieee_div_zero 0
		.amdhsa_exception_fp_ieee_overflow 0
		.amdhsa_exception_fp_ieee_underflow 0
		.amdhsa_exception_fp_ieee_inexact 0
		.amdhsa_exception_int_div_zero 0
	.end_amdhsa_kernel
	.section	.text._ZN9rocsparse29copy_farray_mix_safe_kernel_tId21rocsparse_complex_numIdEvE3runILj1024EEEvmPdPKS2_S5_,"axG",@progbits,_ZN9rocsparse29copy_farray_mix_safe_kernel_tId21rocsparse_complex_numIdEvE3runILj1024EEEvmPdPKS2_S5_,comdat
.Lfunc_end87:
	.size	_ZN9rocsparse29copy_farray_mix_safe_kernel_tId21rocsparse_complex_numIdEvE3runILj1024EEEvmPdPKS2_S5_, .Lfunc_end87-_ZN9rocsparse29copy_farray_mix_safe_kernel_tId21rocsparse_complex_numIdEvE3runILj1024EEEvmPdPKS2_S5_
                                        ; -- End function
	.section	.AMDGPU.csdata,"",@progbits
; Kernel info:
; codeLenInByte = 4
; NumSgprs: 0
; NumVgprs: 0
; ScratchSize: 0
; MemoryBound: 0
; FloatMode: 240
; IeeeMode: 1
; LDSByteSize: 0 bytes/workgroup (compile time only)
; SGPRBlocks: 0
; VGPRBlocks: 0
; NumSGPRsForWavesPerEU: 1
; NumVGPRsForWavesPerEU: 1
; Occupancy: 16
; WaveLimiterHint : 0
; COMPUTE_PGM_RSRC2:SCRATCH_EN: 0
; COMPUTE_PGM_RSRC2:USER_SGPR: 15
; COMPUTE_PGM_RSRC2:TRAP_HANDLER: 0
; COMPUTE_PGM_RSRC2:TGID_X_EN: 1
; COMPUTE_PGM_RSRC2:TGID_Y_EN: 0
; COMPUTE_PGM_RSRC2:TGID_Z_EN: 0
; COMPUTE_PGM_RSRC2:TIDIG_COMP_CNT: 0
	.section	.text._ZN9rocsparse29copy_farray_mix_safe_kernel_tI21rocsparse_complex_numIfEavE3runILj1024EEEvmPS2_PKaPa,"axG",@progbits,_ZN9rocsparse29copy_farray_mix_safe_kernel_tI21rocsparse_complex_numIfEavE3runILj1024EEEvmPS2_PKaPa,comdat
	.protected	_ZN9rocsparse29copy_farray_mix_safe_kernel_tI21rocsparse_complex_numIfEavE3runILj1024EEEvmPS2_PKaPa ; -- Begin function _ZN9rocsparse29copy_farray_mix_safe_kernel_tI21rocsparse_complex_numIfEavE3runILj1024EEEvmPS2_PKaPa
	.globl	_ZN9rocsparse29copy_farray_mix_safe_kernel_tI21rocsparse_complex_numIfEavE3runILj1024EEEvmPS2_PKaPa
	.p2align	8
	.type	_ZN9rocsparse29copy_farray_mix_safe_kernel_tI21rocsparse_complex_numIfEavE3runILj1024EEEvmPS2_PKaPa,@function
_ZN9rocsparse29copy_farray_mix_safe_kernel_tI21rocsparse_complex_numIfEavE3runILj1024EEEvmPS2_PKaPa: ; @_ZN9rocsparse29copy_farray_mix_safe_kernel_tI21rocsparse_complex_numIfEavE3runILj1024EEEvmPS2_PKaPa
; %bb.0:
	s_endpgm
	.section	.rodata,"a",@progbits
	.p2align	6, 0x0
	.amdhsa_kernel _ZN9rocsparse29copy_farray_mix_safe_kernel_tI21rocsparse_complex_numIfEavE3runILj1024EEEvmPS2_PKaPa
		.amdhsa_group_segment_fixed_size 0
		.amdhsa_private_segment_fixed_size 0
		.amdhsa_kernarg_size 32
		.amdhsa_user_sgpr_count 15
		.amdhsa_user_sgpr_dispatch_ptr 0
		.amdhsa_user_sgpr_queue_ptr 0
		.amdhsa_user_sgpr_kernarg_segment_ptr 1
		.amdhsa_user_sgpr_dispatch_id 0
		.amdhsa_user_sgpr_private_segment_size 0
		.amdhsa_wavefront_size32 1
		.amdhsa_uses_dynamic_stack 0
		.amdhsa_enable_private_segment 0
		.amdhsa_system_sgpr_workgroup_id_x 1
		.amdhsa_system_sgpr_workgroup_id_y 0
		.amdhsa_system_sgpr_workgroup_id_z 0
		.amdhsa_system_sgpr_workgroup_info 0
		.amdhsa_system_vgpr_workitem_id 0
		.amdhsa_next_free_vgpr 1
		.amdhsa_next_free_sgpr 1
		.amdhsa_reserve_vcc 0
		.amdhsa_float_round_mode_32 0
		.amdhsa_float_round_mode_16_64 0
		.amdhsa_float_denorm_mode_32 3
		.amdhsa_float_denorm_mode_16_64 3
		.amdhsa_dx10_clamp 1
		.amdhsa_ieee_mode 1
		.amdhsa_fp16_overflow 0
		.amdhsa_workgroup_processor_mode 1
		.amdhsa_memory_ordered 1
		.amdhsa_forward_progress 0
		.amdhsa_shared_vgpr_count 0
		.amdhsa_exception_fp_ieee_invalid_op 0
		.amdhsa_exception_fp_denorm_src 0
		.amdhsa_exception_fp_ieee_div_zero 0
		.amdhsa_exception_fp_ieee_overflow 0
		.amdhsa_exception_fp_ieee_underflow 0
		.amdhsa_exception_fp_ieee_inexact 0
		.amdhsa_exception_int_div_zero 0
	.end_amdhsa_kernel
	.section	.text._ZN9rocsparse29copy_farray_mix_safe_kernel_tI21rocsparse_complex_numIfEavE3runILj1024EEEvmPS2_PKaPa,"axG",@progbits,_ZN9rocsparse29copy_farray_mix_safe_kernel_tI21rocsparse_complex_numIfEavE3runILj1024EEEvmPS2_PKaPa,comdat
.Lfunc_end88:
	.size	_ZN9rocsparse29copy_farray_mix_safe_kernel_tI21rocsparse_complex_numIfEavE3runILj1024EEEvmPS2_PKaPa, .Lfunc_end88-_ZN9rocsparse29copy_farray_mix_safe_kernel_tI21rocsparse_complex_numIfEavE3runILj1024EEEvmPS2_PKaPa
                                        ; -- End function
	.section	.AMDGPU.csdata,"",@progbits
; Kernel info:
; codeLenInByte = 4
; NumSgprs: 0
; NumVgprs: 0
; ScratchSize: 0
; MemoryBound: 0
; FloatMode: 240
; IeeeMode: 1
; LDSByteSize: 0 bytes/workgroup (compile time only)
; SGPRBlocks: 0
; VGPRBlocks: 0
; NumSGPRsForWavesPerEU: 1
; NumVGPRsForWavesPerEU: 1
; Occupancy: 16
; WaveLimiterHint : 0
; COMPUTE_PGM_RSRC2:SCRATCH_EN: 0
; COMPUTE_PGM_RSRC2:USER_SGPR: 15
; COMPUTE_PGM_RSRC2:TRAP_HANDLER: 0
; COMPUTE_PGM_RSRC2:TGID_X_EN: 1
; COMPUTE_PGM_RSRC2:TGID_Y_EN: 0
; COMPUTE_PGM_RSRC2:TGID_Z_EN: 0
; COMPUTE_PGM_RSRC2:TIDIG_COMP_CNT: 0
	.section	.text._ZN9rocsparse29copy_farray_mix_safe_kernel_tI21rocsparse_complex_numIfEhvE3runILj1024EEEvmPS2_PKhPh,"axG",@progbits,_ZN9rocsparse29copy_farray_mix_safe_kernel_tI21rocsparse_complex_numIfEhvE3runILj1024EEEvmPS2_PKhPh,comdat
	.protected	_ZN9rocsparse29copy_farray_mix_safe_kernel_tI21rocsparse_complex_numIfEhvE3runILj1024EEEvmPS2_PKhPh ; -- Begin function _ZN9rocsparse29copy_farray_mix_safe_kernel_tI21rocsparse_complex_numIfEhvE3runILj1024EEEvmPS2_PKhPh
	.globl	_ZN9rocsparse29copy_farray_mix_safe_kernel_tI21rocsparse_complex_numIfEhvE3runILj1024EEEvmPS2_PKhPh
	.p2align	8
	.type	_ZN9rocsparse29copy_farray_mix_safe_kernel_tI21rocsparse_complex_numIfEhvE3runILj1024EEEvmPS2_PKhPh,@function
_ZN9rocsparse29copy_farray_mix_safe_kernel_tI21rocsparse_complex_numIfEhvE3runILj1024EEEvmPS2_PKhPh: ; @_ZN9rocsparse29copy_farray_mix_safe_kernel_tI21rocsparse_complex_numIfEhvE3runILj1024EEEvmPS2_PKhPh
; %bb.0:
	s_endpgm
	.section	.rodata,"a",@progbits
	.p2align	6, 0x0
	.amdhsa_kernel _ZN9rocsparse29copy_farray_mix_safe_kernel_tI21rocsparse_complex_numIfEhvE3runILj1024EEEvmPS2_PKhPh
		.amdhsa_group_segment_fixed_size 0
		.amdhsa_private_segment_fixed_size 0
		.amdhsa_kernarg_size 32
		.amdhsa_user_sgpr_count 15
		.amdhsa_user_sgpr_dispatch_ptr 0
		.amdhsa_user_sgpr_queue_ptr 0
		.amdhsa_user_sgpr_kernarg_segment_ptr 1
		.amdhsa_user_sgpr_dispatch_id 0
		.amdhsa_user_sgpr_private_segment_size 0
		.amdhsa_wavefront_size32 1
		.amdhsa_uses_dynamic_stack 0
		.amdhsa_enable_private_segment 0
		.amdhsa_system_sgpr_workgroup_id_x 1
		.amdhsa_system_sgpr_workgroup_id_y 0
		.amdhsa_system_sgpr_workgroup_id_z 0
		.amdhsa_system_sgpr_workgroup_info 0
		.amdhsa_system_vgpr_workitem_id 0
		.amdhsa_next_free_vgpr 1
		.amdhsa_next_free_sgpr 1
		.amdhsa_reserve_vcc 0
		.amdhsa_float_round_mode_32 0
		.amdhsa_float_round_mode_16_64 0
		.amdhsa_float_denorm_mode_32 3
		.amdhsa_float_denorm_mode_16_64 3
		.amdhsa_dx10_clamp 1
		.amdhsa_ieee_mode 1
		.amdhsa_fp16_overflow 0
		.amdhsa_workgroup_processor_mode 1
		.amdhsa_memory_ordered 1
		.amdhsa_forward_progress 0
		.amdhsa_shared_vgpr_count 0
		.amdhsa_exception_fp_ieee_invalid_op 0
		.amdhsa_exception_fp_denorm_src 0
		.amdhsa_exception_fp_ieee_div_zero 0
		.amdhsa_exception_fp_ieee_overflow 0
		.amdhsa_exception_fp_ieee_underflow 0
		.amdhsa_exception_fp_ieee_inexact 0
		.amdhsa_exception_int_div_zero 0
	.end_amdhsa_kernel
	.section	.text._ZN9rocsparse29copy_farray_mix_safe_kernel_tI21rocsparse_complex_numIfEhvE3runILj1024EEEvmPS2_PKhPh,"axG",@progbits,_ZN9rocsparse29copy_farray_mix_safe_kernel_tI21rocsparse_complex_numIfEhvE3runILj1024EEEvmPS2_PKhPh,comdat
.Lfunc_end89:
	.size	_ZN9rocsparse29copy_farray_mix_safe_kernel_tI21rocsparse_complex_numIfEhvE3runILj1024EEEvmPS2_PKhPh, .Lfunc_end89-_ZN9rocsparse29copy_farray_mix_safe_kernel_tI21rocsparse_complex_numIfEhvE3runILj1024EEEvmPS2_PKhPh
                                        ; -- End function
	.section	.AMDGPU.csdata,"",@progbits
; Kernel info:
; codeLenInByte = 4
; NumSgprs: 0
; NumVgprs: 0
; ScratchSize: 0
; MemoryBound: 0
; FloatMode: 240
; IeeeMode: 1
; LDSByteSize: 0 bytes/workgroup (compile time only)
; SGPRBlocks: 0
; VGPRBlocks: 0
; NumSGPRsForWavesPerEU: 1
; NumVGPRsForWavesPerEU: 1
; Occupancy: 16
; WaveLimiterHint : 0
; COMPUTE_PGM_RSRC2:SCRATCH_EN: 0
; COMPUTE_PGM_RSRC2:USER_SGPR: 15
; COMPUTE_PGM_RSRC2:TRAP_HANDLER: 0
; COMPUTE_PGM_RSRC2:TGID_X_EN: 1
; COMPUTE_PGM_RSRC2:TGID_Y_EN: 0
; COMPUTE_PGM_RSRC2:TGID_Z_EN: 0
; COMPUTE_PGM_RSRC2:TIDIG_COMP_CNT: 0
	.section	.text._ZN9rocsparse29copy_farray_mix_safe_kernel_tI21rocsparse_complex_numIfEivE3runILj1024EEEvmPS2_PKiPi,"axG",@progbits,_ZN9rocsparse29copy_farray_mix_safe_kernel_tI21rocsparse_complex_numIfEivE3runILj1024EEEvmPS2_PKiPi,comdat
	.protected	_ZN9rocsparse29copy_farray_mix_safe_kernel_tI21rocsparse_complex_numIfEivE3runILj1024EEEvmPS2_PKiPi ; -- Begin function _ZN9rocsparse29copy_farray_mix_safe_kernel_tI21rocsparse_complex_numIfEivE3runILj1024EEEvmPS2_PKiPi
	.globl	_ZN9rocsparse29copy_farray_mix_safe_kernel_tI21rocsparse_complex_numIfEivE3runILj1024EEEvmPS2_PKiPi
	.p2align	8
	.type	_ZN9rocsparse29copy_farray_mix_safe_kernel_tI21rocsparse_complex_numIfEivE3runILj1024EEEvmPS2_PKiPi,@function
_ZN9rocsparse29copy_farray_mix_safe_kernel_tI21rocsparse_complex_numIfEivE3runILj1024EEEvmPS2_PKiPi: ; @_ZN9rocsparse29copy_farray_mix_safe_kernel_tI21rocsparse_complex_numIfEivE3runILj1024EEEvmPS2_PKiPi
; %bb.0:
	s_endpgm
	.section	.rodata,"a",@progbits
	.p2align	6, 0x0
	.amdhsa_kernel _ZN9rocsparse29copy_farray_mix_safe_kernel_tI21rocsparse_complex_numIfEivE3runILj1024EEEvmPS2_PKiPi
		.amdhsa_group_segment_fixed_size 0
		.amdhsa_private_segment_fixed_size 0
		.amdhsa_kernarg_size 32
		.amdhsa_user_sgpr_count 15
		.amdhsa_user_sgpr_dispatch_ptr 0
		.amdhsa_user_sgpr_queue_ptr 0
		.amdhsa_user_sgpr_kernarg_segment_ptr 1
		.amdhsa_user_sgpr_dispatch_id 0
		.amdhsa_user_sgpr_private_segment_size 0
		.amdhsa_wavefront_size32 1
		.amdhsa_uses_dynamic_stack 0
		.amdhsa_enable_private_segment 0
		.amdhsa_system_sgpr_workgroup_id_x 1
		.amdhsa_system_sgpr_workgroup_id_y 0
		.amdhsa_system_sgpr_workgroup_id_z 0
		.amdhsa_system_sgpr_workgroup_info 0
		.amdhsa_system_vgpr_workitem_id 0
		.amdhsa_next_free_vgpr 1
		.amdhsa_next_free_sgpr 1
		.amdhsa_reserve_vcc 0
		.amdhsa_float_round_mode_32 0
		.amdhsa_float_round_mode_16_64 0
		.amdhsa_float_denorm_mode_32 3
		.amdhsa_float_denorm_mode_16_64 3
		.amdhsa_dx10_clamp 1
		.amdhsa_ieee_mode 1
		.amdhsa_fp16_overflow 0
		.amdhsa_workgroup_processor_mode 1
		.amdhsa_memory_ordered 1
		.amdhsa_forward_progress 0
		.amdhsa_shared_vgpr_count 0
		.amdhsa_exception_fp_ieee_invalid_op 0
		.amdhsa_exception_fp_denorm_src 0
		.amdhsa_exception_fp_ieee_div_zero 0
		.amdhsa_exception_fp_ieee_overflow 0
		.amdhsa_exception_fp_ieee_underflow 0
		.amdhsa_exception_fp_ieee_inexact 0
		.amdhsa_exception_int_div_zero 0
	.end_amdhsa_kernel
	.section	.text._ZN9rocsparse29copy_farray_mix_safe_kernel_tI21rocsparse_complex_numIfEivE3runILj1024EEEvmPS2_PKiPi,"axG",@progbits,_ZN9rocsparse29copy_farray_mix_safe_kernel_tI21rocsparse_complex_numIfEivE3runILj1024EEEvmPS2_PKiPi,comdat
.Lfunc_end90:
	.size	_ZN9rocsparse29copy_farray_mix_safe_kernel_tI21rocsparse_complex_numIfEivE3runILj1024EEEvmPS2_PKiPi, .Lfunc_end90-_ZN9rocsparse29copy_farray_mix_safe_kernel_tI21rocsparse_complex_numIfEivE3runILj1024EEEvmPS2_PKiPi
                                        ; -- End function
	.section	.AMDGPU.csdata,"",@progbits
; Kernel info:
; codeLenInByte = 4
; NumSgprs: 0
; NumVgprs: 0
; ScratchSize: 0
; MemoryBound: 0
; FloatMode: 240
; IeeeMode: 1
; LDSByteSize: 0 bytes/workgroup (compile time only)
; SGPRBlocks: 0
; VGPRBlocks: 0
; NumSGPRsForWavesPerEU: 1
; NumVGPRsForWavesPerEU: 1
; Occupancy: 16
; WaveLimiterHint : 0
; COMPUTE_PGM_RSRC2:SCRATCH_EN: 0
; COMPUTE_PGM_RSRC2:USER_SGPR: 15
; COMPUTE_PGM_RSRC2:TRAP_HANDLER: 0
; COMPUTE_PGM_RSRC2:TGID_X_EN: 1
; COMPUTE_PGM_RSRC2:TGID_Y_EN: 0
; COMPUTE_PGM_RSRC2:TGID_Z_EN: 0
; COMPUTE_PGM_RSRC2:TIDIG_COMP_CNT: 0
	.section	.text._ZN9rocsparse29copy_farray_mix_safe_kernel_tI21rocsparse_complex_numIfEjvE3runILj1024EEEvmPS2_PKjPj,"axG",@progbits,_ZN9rocsparse29copy_farray_mix_safe_kernel_tI21rocsparse_complex_numIfEjvE3runILj1024EEEvmPS2_PKjPj,comdat
	.protected	_ZN9rocsparse29copy_farray_mix_safe_kernel_tI21rocsparse_complex_numIfEjvE3runILj1024EEEvmPS2_PKjPj ; -- Begin function _ZN9rocsparse29copy_farray_mix_safe_kernel_tI21rocsparse_complex_numIfEjvE3runILj1024EEEvmPS2_PKjPj
	.globl	_ZN9rocsparse29copy_farray_mix_safe_kernel_tI21rocsparse_complex_numIfEjvE3runILj1024EEEvmPS2_PKjPj
	.p2align	8
	.type	_ZN9rocsparse29copy_farray_mix_safe_kernel_tI21rocsparse_complex_numIfEjvE3runILj1024EEEvmPS2_PKjPj,@function
_ZN9rocsparse29copy_farray_mix_safe_kernel_tI21rocsparse_complex_numIfEjvE3runILj1024EEEvmPS2_PKjPj: ; @_ZN9rocsparse29copy_farray_mix_safe_kernel_tI21rocsparse_complex_numIfEjvE3runILj1024EEEvmPS2_PKjPj
; %bb.0:
	s_endpgm
	.section	.rodata,"a",@progbits
	.p2align	6, 0x0
	.amdhsa_kernel _ZN9rocsparse29copy_farray_mix_safe_kernel_tI21rocsparse_complex_numIfEjvE3runILj1024EEEvmPS2_PKjPj
		.amdhsa_group_segment_fixed_size 0
		.amdhsa_private_segment_fixed_size 0
		.amdhsa_kernarg_size 32
		.amdhsa_user_sgpr_count 15
		.amdhsa_user_sgpr_dispatch_ptr 0
		.amdhsa_user_sgpr_queue_ptr 0
		.amdhsa_user_sgpr_kernarg_segment_ptr 1
		.amdhsa_user_sgpr_dispatch_id 0
		.amdhsa_user_sgpr_private_segment_size 0
		.amdhsa_wavefront_size32 1
		.amdhsa_uses_dynamic_stack 0
		.amdhsa_enable_private_segment 0
		.amdhsa_system_sgpr_workgroup_id_x 1
		.amdhsa_system_sgpr_workgroup_id_y 0
		.amdhsa_system_sgpr_workgroup_id_z 0
		.amdhsa_system_sgpr_workgroup_info 0
		.amdhsa_system_vgpr_workitem_id 0
		.amdhsa_next_free_vgpr 1
		.amdhsa_next_free_sgpr 1
		.amdhsa_reserve_vcc 0
		.amdhsa_float_round_mode_32 0
		.amdhsa_float_round_mode_16_64 0
		.amdhsa_float_denorm_mode_32 3
		.amdhsa_float_denorm_mode_16_64 3
		.amdhsa_dx10_clamp 1
		.amdhsa_ieee_mode 1
		.amdhsa_fp16_overflow 0
		.amdhsa_workgroup_processor_mode 1
		.amdhsa_memory_ordered 1
		.amdhsa_forward_progress 0
		.amdhsa_shared_vgpr_count 0
		.amdhsa_exception_fp_ieee_invalid_op 0
		.amdhsa_exception_fp_denorm_src 0
		.amdhsa_exception_fp_ieee_div_zero 0
		.amdhsa_exception_fp_ieee_overflow 0
		.amdhsa_exception_fp_ieee_underflow 0
		.amdhsa_exception_fp_ieee_inexact 0
		.amdhsa_exception_int_div_zero 0
	.end_amdhsa_kernel
	.section	.text._ZN9rocsparse29copy_farray_mix_safe_kernel_tI21rocsparse_complex_numIfEjvE3runILj1024EEEvmPS2_PKjPj,"axG",@progbits,_ZN9rocsparse29copy_farray_mix_safe_kernel_tI21rocsparse_complex_numIfEjvE3runILj1024EEEvmPS2_PKjPj,comdat
.Lfunc_end91:
	.size	_ZN9rocsparse29copy_farray_mix_safe_kernel_tI21rocsparse_complex_numIfEjvE3runILj1024EEEvmPS2_PKjPj, .Lfunc_end91-_ZN9rocsparse29copy_farray_mix_safe_kernel_tI21rocsparse_complex_numIfEjvE3runILj1024EEEvmPS2_PKjPj
                                        ; -- End function
	.section	.AMDGPU.csdata,"",@progbits
; Kernel info:
; codeLenInByte = 4
; NumSgprs: 0
; NumVgprs: 0
; ScratchSize: 0
; MemoryBound: 0
; FloatMode: 240
; IeeeMode: 1
; LDSByteSize: 0 bytes/workgroup (compile time only)
; SGPRBlocks: 0
; VGPRBlocks: 0
; NumSGPRsForWavesPerEU: 1
; NumVGPRsForWavesPerEU: 1
; Occupancy: 16
; WaveLimiterHint : 0
; COMPUTE_PGM_RSRC2:SCRATCH_EN: 0
; COMPUTE_PGM_RSRC2:USER_SGPR: 15
; COMPUTE_PGM_RSRC2:TRAP_HANDLER: 0
; COMPUTE_PGM_RSRC2:TGID_X_EN: 1
; COMPUTE_PGM_RSRC2:TGID_Y_EN: 0
; COMPUTE_PGM_RSRC2:TGID_Z_EN: 0
; COMPUTE_PGM_RSRC2:TIDIG_COMP_CNT: 0
	.section	.text._ZN9rocsparse29copy_farray_mix_safe_kernel_tI21rocsparse_complex_numIfEDF16_vE3runILj1024EEEvmPS2_PKDF16_PDF16_,"axG",@progbits,_ZN9rocsparse29copy_farray_mix_safe_kernel_tI21rocsparse_complex_numIfEDF16_vE3runILj1024EEEvmPS2_PKDF16_PDF16_,comdat
	.protected	_ZN9rocsparse29copy_farray_mix_safe_kernel_tI21rocsparse_complex_numIfEDF16_vE3runILj1024EEEvmPS2_PKDF16_PDF16_ ; -- Begin function _ZN9rocsparse29copy_farray_mix_safe_kernel_tI21rocsparse_complex_numIfEDF16_vE3runILj1024EEEvmPS2_PKDF16_PDF16_
	.globl	_ZN9rocsparse29copy_farray_mix_safe_kernel_tI21rocsparse_complex_numIfEDF16_vE3runILj1024EEEvmPS2_PKDF16_PDF16_
	.p2align	8
	.type	_ZN9rocsparse29copy_farray_mix_safe_kernel_tI21rocsparse_complex_numIfEDF16_vE3runILj1024EEEvmPS2_PKDF16_PDF16_,@function
_ZN9rocsparse29copy_farray_mix_safe_kernel_tI21rocsparse_complex_numIfEDF16_vE3runILj1024EEEvmPS2_PKDF16_PDF16_: ; @_ZN9rocsparse29copy_farray_mix_safe_kernel_tI21rocsparse_complex_numIfEDF16_vE3runILj1024EEEvmPS2_PKDF16_PDF16_
; %bb.0:
	s_endpgm
	.section	.rodata,"a",@progbits
	.p2align	6, 0x0
	.amdhsa_kernel _ZN9rocsparse29copy_farray_mix_safe_kernel_tI21rocsparse_complex_numIfEDF16_vE3runILj1024EEEvmPS2_PKDF16_PDF16_
		.amdhsa_group_segment_fixed_size 0
		.amdhsa_private_segment_fixed_size 0
		.amdhsa_kernarg_size 32
		.amdhsa_user_sgpr_count 15
		.amdhsa_user_sgpr_dispatch_ptr 0
		.amdhsa_user_sgpr_queue_ptr 0
		.amdhsa_user_sgpr_kernarg_segment_ptr 1
		.amdhsa_user_sgpr_dispatch_id 0
		.amdhsa_user_sgpr_private_segment_size 0
		.amdhsa_wavefront_size32 1
		.amdhsa_uses_dynamic_stack 0
		.amdhsa_enable_private_segment 0
		.amdhsa_system_sgpr_workgroup_id_x 1
		.amdhsa_system_sgpr_workgroup_id_y 0
		.amdhsa_system_sgpr_workgroup_id_z 0
		.amdhsa_system_sgpr_workgroup_info 0
		.amdhsa_system_vgpr_workitem_id 0
		.amdhsa_next_free_vgpr 1
		.amdhsa_next_free_sgpr 1
		.amdhsa_reserve_vcc 0
		.amdhsa_float_round_mode_32 0
		.amdhsa_float_round_mode_16_64 0
		.amdhsa_float_denorm_mode_32 3
		.amdhsa_float_denorm_mode_16_64 3
		.amdhsa_dx10_clamp 1
		.amdhsa_ieee_mode 1
		.amdhsa_fp16_overflow 0
		.amdhsa_workgroup_processor_mode 1
		.amdhsa_memory_ordered 1
		.amdhsa_forward_progress 0
		.amdhsa_shared_vgpr_count 0
		.amdhsa_exception_fp_ieee_invalid_op 0
		.amdhsa_exception_fp_denorm_src 0
		.amdhsa_exception_fp_ieee_div_zero 0
		.amdhsa_exception_fp_ieee_overflow 0
		.amdhsa_exception_fp_ieee_underflow 0
		.amdhsa_exception_fp_ieee_inexact 0
		.amdhsa_exception_int_div_zero 0
	.end_amdhsa_kernel
	.section	.text._ZN9rocsparse29copy_farray_mix_safe_kernel_tI21rocsparse_complex_numIfEDF16_vE3runILj1024EEEvmPS2_PKDF16_PDF16_,"axG",@progbits,_ZN9rocsparse29copy_farray_mix_safe_kernel_tI21rocsparse_complex_numIfEDF16_vE3runILj1024EEEvmPS2_PKDF16_PDF16_,comdat
.Lfunc_end92:
	.size	_ZN9rocsparse29copy_farray_mix_safe_kernel_tI21rocsparse_complex_numIfEDF16_vE3runILj1024EEEvmPS2_PKDF16_PDF16_, .Lfunc_end92-_ZN9rocsparse29copy_farray_mix_safe_kernel_tI21rocsparse_complex_numIfEDF16_vE3runILj1024EEEvmPS2_PKDF16_PDF16_
                                        ; -- End function
	.section	.AMDGPU.csdata,"",@progbits
; Kernel info:
; codeLenInByte = 4
; NumSgprs: 0
; NumVgprs: 0
; ScratchSize: 0
; MemoryBound: 0
; FloatMode: 240
; IeeeMode: 1
; LDSByteSize: 0 bytes/workgroup (compile time only)
; SGPRBlocks: 0
; VGPRBlocks: 0
; NumSGPRsForWavesPerEU: 1
; NumVGPRsForWavesPerEU: 1
; Occupancy: 16
; WaveLimiterHint : 0
; COMPUTE_PGM_RSRC2:SCRATCH_EN: 0
; COMPUTE_PGM_RSRC2:USER_SGPR: 15
; COMPUTE_PGM_RSRC2:TRAP_HANDLER: 0
; COMPUTE_PGM_RSRC2:TGID_X_EN: 1
; COMPUTE_PGM_RSRC2:TGID_Y_EN: 0
; COMPUTE_PGM_RSRC2:TGID_Z_EN: 0
; COMPUTE_PGM_RSRC2:TIDIG_COMP_CNT: 0
	.section	.text._ZN9rocsparse29copy_farray_mix_safe_kernel_tI21rocsparse_complex_numIfE18rocsparse_bfloat16vE3runILj1024EEEvmPS2_PKS3_PS3_,"axG",@progbits,_ZN9rocsparse29copy_farray_mix_safe_kernel_tI21rocsparse_complex_numIfE18rocsparse_bfloat16vE3runILj1024EEEvmPS2_PKS3_PS3_,comdat
	.protected	_ZN9rocsparse29copy_farray_mix_safe_kernel_tI21rocsparse_complex_numIfE18rocsparse_bfloat16vE3runILj1024EEEvmPS2_PKS3_PS3_ ; -- Begin function _ZN9rocsparse29copy_farray_mix_safe_kernel_tI21rocsparse_complex_numIfE18rocsparse_bfloat16vE3runILj1024EEEvmPS2_PKS3_PS3_
	.globl	_ZN9rocsparse29copy_farray_mix_safe_kernel_tI21rocsparse_complex_numIfE18rocsparse_bfloat16vE3runILj1024EEEvmPS2_PKS3_PS3_
	.p2align	8
	.type	_ZN9rocsparse29copy_farray_mix_safe_kernel_tI21rocsparse_complex_numIfE18rocsparse_bfloat16vE3runILj1024EEEvmPS2_PKS3_PS3_,@function
_ZN9rocsparse29copy_farray_mix_safe_kernel_tI21rocsparse_complex_numIfE18rocsparse_bfloat16vE3runILj1024EEEvmPS2_PKS3_PS3_: ; @_ZN9rocsparse29copy_farray_mix_safe_kernel_tI21rocsparse_complex_numIfE18rocsparse_bfloat16vE3runILj1024EEEvmPS2_PKS3_PS3_
; %bb.0:
	s_endpgm
	.section	.rodata,"a",@progbits
	.p2align	6, 0x0
	.amdhsa_kernel _ZN9rocsparse29copy_farray_mix_safe_kernel_tI21rocsparse_complex_numIfE18rocsparse_bfloat16vE3runILj1024EEEvmPS2_PKS3_PS3_
		.amdhsa_group_segment_fixed_size 0
		.amdhsa_private_segment_fixed_size 0
		.amdhsa_kernarg_size 32
		.amdhsa_user_sgpr_count 15
		.amdhsa_user_sgpr_dispatch_ptr 0
		.amdhsa_user_sgpr_queue_ptr 0
		.amdhsa_user_sgpr_kernarg_segment_ptr 1
		.amdhsa_user_sgpr_dispatch_id 0
		.amdhsa_user_sgpr_private_segment_size 0
		.amdhsa_wavefront_size32 1
		.amdhsa_uses_dynamic_stack 0
		.amdhsa_enable_private_segment 0
		.amdhsa_system_sgpr_workgroup_id_x 1
		.amdhsa_system_sgpr_workgroup_id_y 0
		.amdhsa_system_sgpr_workgroup_id_z 0
		.amdhsa_system_sgpr_workgroup_info 0
		.amdhsa_system_vgpr_workitem_id 0
		.amdhsa_next_free_vgpr 1
		.amdhsa_next_free_sgpr 1
		.amdhsa_reserve_vcc 0
		.amdhsa_float_round_mode_32 0
		.amdhsa_float_round_mode_16_64 0
		.amdhsa_float_denorm_mode_32 3
		.amdhsa_float_denorm_mode_16_64 3
		.amdhsa_dx10_clamp 1
		.amdhsa_ieee_mode 1
		.amdhsa_fp16_overflow 0
		.amdhsa_workgroup_processor_mode 1
		.amdhsa_memory_ordered 1
		.amdhsa_forward_progress 0
		.amdhsa_shared_vgpr_count 0
		.amdhsa_exception_fp_ieee_invalid_op 0
		.amdhsa_exception_fp_denorm_src 0
		.amdhsa_exception_fp_ieee_div_zero 0
		.amdhsa_exception_fp_ieee_overflow 0
		.amdhsa_exception_fp_ieee_underflow 0
		.amdhsa_exception_fp_ieee_inexact 0
		.amdhsa_exception_int_div_zero 0
	.end_amdhsa_kernel
	.section	.text._ZN9rocsparse29copy_farray_mix_safe_kernel_tI21rocsparse_complex_numIfE18rocsparse_bfloat16vE3runILj1024EEEvmPS2_PKS3_PS3_,"axG",@progbits,_ZN9rocsparse29copy_farray_mix_safe_kernel_tI21rocsparse_complex_numIfE18rocsparse_bfloat16vE3runILj1024EEEvmPS2_PKS3_PS3_,comdat
.Lfunc_end93:
	.size	_ZN9rocsparse29copy_farray_mix_safe_kernel_tI21rocsparse_complex_numIfE18rocsparse_bfloat16vE3runILj1024EEEvmPS2_PKS3_PS3_, .Lfunc_end93-_ZN9rocsparse29copy_farray_mix_safe_kernel_tI21rocsparse_complex_numIfE18rocsparse_bfloat16vE3runILj1024EEEvmPS2_PKS3_PS3_
                                        ; -- End function
	.section	.AMDGPU.csdata,"",@progbits
; Kernel info:
; codeLenInByte = 4
; NumSgprs: 0
; NumVgprs: 0
; ScratchSize: 0
; MemoryBound: 0
; FloatMode: 240
; IeeeMode: 1
; LDSByteSize: 0 bytes/workgroup (compile time only)
; SGPRBlocks: 0
; VGPRBlocks: 0
; NumSGPRsForWavesPerEU: 1
; NumVGPRsForWavesPerEU: 1
; Occupancy: 16
; WaveLimiterHint : 0
; COMPUTE_PGM_RSRC2:SCRATCH_EN: 0
; COMPUTE_PGM_RSRC2:USER_SGPR: 15
; COMPUTE_PGM_RSRC2:TRAP_HANDLER: 0
; COMPUTE_PGM_RSRC2:TGID_X_EN: 1
; COMPUTE_PGM_RSRC2:TGID_Y_EN: 0
; COMPUTE_PGM_RSRC2:TGID_Z_EN: 0
; COMPUTE_PGM_RSRC2:TIDIG_COMP_CNT: 0
	.section	.text._ZN9rocsparse29copy_farray_mix_safe_kernel_tI21rocsparse_complex_numIfEfvE3runILj1024EEEvmPS2_PKfPf,"axG",@progbits,_ZN9rocsparse29copy_farray_mix_safe_kernel_tI21rocsparse_complex_numIfEfvE3runILj1024EEEvmPS2_PKfPf,comdat
	.protected	_ZN9rocsparse29copy_farray_mix_safe_kernel_tI21rocsparse_complex_numIfEfvE3runILj1024EEEvmPS2_PKfPf ; -- Begin function _ZN9rocsparse29copy_farray_mix_safe_kernel_tI21rocsparse_complex_numIfEfvE3runILj1024EEEvmPS2_PKfPf
	.globl	_ZN9rocsparse29copy_farray_mix_safe_kernel_tI21rocsparse_complex_numIfEfvE3runILj1024EEEvmPS2_PKfPf
	.p2align	8
	.type	_ZN9rocsparse29copy_farray_mix_safe_kernel_tI21rocsparse_complex_numIfEfvE3runILj1024EEEvmPS2_PKfPf,@function
_ZN9rocsparse29copy_farray_mix_safe_kernel_tI21rocsparse_complex_numIfEfvE3runILj1024EEEvmPS2_PKfPf: ; @_ZN9rocsparse29copy_farray_mix_safe_kernel_tI21rocsparse_complex_numIfEfvE3runILj1024EEEvmPS2_PKfPf
; %bb.0:
	s_load_b128 s[4:7], s[0:1], 0x0
	v_lshl_or_b32 v0, s15, 10, v0
	v_mov_b32_e32 v1, 0
	s_mov_b32 s2, exec_lo
	s_waitcnt lgkmcnt(0)
	s_delay_alu instid0(VALU_DEP_1)
	v_cmpx_gt_u64_e64 s[4:5], v[0:1]
	s_cbranch_execz .LBB94_2
; %bb.1:
	s_load_b64 s[0:1], s[0:1], 0x10
	v_lshlrev_b64 v[2:3], 2, v[0:1]
	v_lshlrev_b64 v[4:5], 3, v[0:1]
	s_waitcnt lgkmcnt(0)
	s_delay_alu instid0(VALU_DEP_2) | instskip(NEXT) | instid1(VALU_DEP_3)
	v_add_co_u32 v2, vcc_lo, s0, v2
	v_add_co_ci_u32_e32 v3, vcc_lo, s1, v3, vcc_lo
	global_load_b32 v0, v[2:3], off
	v_add_co_u32 v2, vcc_lo, s6, v4
	v_add_co_ci_u32_e32 v3, vcc_lo, s7, v5, vcc_lo
	s_waitcnt vmcnt(0)
	global_store_b64 v[2:3], v[0:1], off
.LBB94_2:
	s_nop 0
	s_sendmsg sendmsg(MSG_DEALLOC_VGPRS)
	s_endpgm
	.section	.rodata,"a",@progbits
	.p2align	6, 0x0
	.amdhsa_kernel _ZN9rocsparse29copy_farray_mix_safe_kernel_tI21rocsparse_complex_numIfEfvE3runILj1024EEEvmPS2_PKfPf
		.amdhsa_group_segment_fixed_size 0
		.amdhsa_private_segment_fixed_size 0
		.amdhsa_kernarg_size 32
		.amdhsa_user_sgpr_count 15
		.amdhsa_user_sgpr_dispatch_ptr 0
		.amdhsa_user_sgpr_queue_ptr 0
		.amdhsa_user_sgpr_kernarg_segment_ptr 1
		.amdhsa_user_sgpr_dispatch_id 0
		.amdhsa_user_sgpr_private_segment_size 0
		.amdhsa_wavefront_size32 1
		.amdhsa_uses_dynamic_stack 0
		.amdhsa_enable_private_segment 0
		.amdhsa_system_sgpr_workgroup_id_x 1
		.amdhsa_system_sgpr_workgroup_id_y 0
		.amdhsa_system_sgpr_workgroup_id_z 0
		.amdhsa_system_sgpr_workgroup_info 0
		.amdhsa_system_vgpr_workitem_id 0
		.amdhsa_next_free_vgpr 6
		.amdhsa_next_free_sgpr 16
		.amdhsa_reserve_vcc 1
		.amdhsa_float_round_mode_32 0
		.amdhsa_float_round_mode_16_64 0
		.amdhsa_float_denorm_mode_32 3
		.amdhsa_float_denorm_mode_16_64 3
		.amdhsa_dx10_clamp 1
		.amdhsa_ieee_mode 1
		.amdhsa_fp16_overflow 0
		.amdhsa_workgroup_processor_mode 1
		.amdhsa_memory_ordered 1
		.amdhsa_forward_progress 0
		.amdhsa_shared_vgpr_count 0
		.amdhsa_exception_fp_ieee_invalid_op 0
		.amdhsa_exception_fp_denorm_src 0
		.amdhsa_exception_fp_ieee_div_zero 0
		.amdhsa_exception_fp_ieee_overflow 0
		.amdhsa_exception_fp_ieee_underflow 0
		.amdhsa_exception_fp_ieee_inexact 0
		.amdhsa_exception_int_div_zero 0
	.end_amdhsa_kernel
	.section	.text._ZN9rocsparse29copy_farray_mix_safe_kernel_tI21rocsparse_complex_numIfEfvE3runILj1024EEEvmPS2_PKfPf,"axG",@progbits,_ZN9rocsparse29copy_farray_mix_safe_kernel_tI21rocsparse_complex_numIfEfvE3runILj1024EEEvmPS2_PKfPf,comdat
.Lfunc_end94:
	.size	_ZN9rocsparse29copy_farray_mix_safe_kernel_tI21rocsparse_complex_numIfEfvE3runILj1024EEEvmPS2_PKfPf, .Lfunc_end94-_ZN9rocsparse29copy_farray_mix_safe_kernel_tI21rocsparse_complex_numIfEfvE3runILj1024EEEvmPS2_PKfPf
                                        ; -- End function
	.section	.AMDGPU.csdata,"",@progbits
; Kernel info:
; codeLenInByte = 132
; NumSgprs: 18
; NumVgprs: 6
; ScratchSize: 0
; MemoryBound: 0
; FloatMode: 240
; IeeeMode: 1
; LDSByteSize: 0 bytes/workgroup (compile time only)
; SGPRBlocks: 2
; VGPRBlocks: 0
; NumSGPRsForWavesPerEU: 18
; NumVGPRsForWavesPerEU: 6
; Occupancy: 16
; WaveLimiterHint : 0
; COMPUTE_PGM_RSRC2:SCRATCH_EN: 0
; COMPUTE_PGM_RSRC2:USER_SGPR: 15
; COMPUTE_PGM_RSRC2:TRAP_HANDLER: 0
; COMPUTE_PGM_RSRC2:TGID_X_EN: 1
; COMPUTE_PGM_RSRC2:TGID_Y_EN: 0
; COMPUTE_PGM_RSRC2:TGID_Z_EN: 0
; COMPUTE_PGM_RSRC2:TIDIG_COMP_CNT: 0
	.section	.text._ZN9rocsparse29copy_farray_mix_safe_kernel_tI21rocsparse_complex_numIfEdvE3runILj1024EEEvmPS2_PKdPd,"axG",@progbits,_ZN9rocsparse29copy_farray_mix_safe_kernel_tI21rocsparse_complex_numIfEdvE3runILj1024EEEvmPS2_PKdPd,comdat
	.protected	_ZN9rocsparse29copy_farray_mix_safe_kernel_tI21rocsparse_complex_numIfEdvE3runILj1024EEEvmPS2_PKdPd ; -- Begin function _ZN9rocsparse29copy_farray_mix_safe_kernel_tI21rocsparse_complex_numIfEdvE3runILj1024EEEvmPS2_PKdPd
	.globl	_ZN9rocsparse29copy_farray_mix_safe_kernel_tI21rocsparse_complex_numIfEdvE3runILj1024EEEvmPS2_PKdPd
	.p2align	8
	.type	_ZN9rocsparse29copy_farray_mix_safe_kernel_tI21rocsparse_complex_numIfEdvE3runILj1024EEEvmPS2_PKdPd,@function
_ZN9rocsparse29copy_farray_mix_safe_kernel_tI21rocsparse_complex_numIfEdvE3runILj1024EEEvmPS2_PKdPd: ; @_ZN9rocsparse29copy_farray_mix_safe_kernel_tI21rocsparse_complex_numIfEdvE3runILj1024EEEvmPS2_PKdPd
; %bb.0:
	s_load_b256 s[0:7], s[0:1], 0x0
	v_dual_mov_b32 v2, 0 :: v_dual_mov_b32 v3, 0
	v_lshl_or_b32 v1, s15, 10, v0
	v_mov_b32_e32 v4, 0
	s_waitcnt lgkmcnt(0)
	s_delay_alu instid0(VALU_DEP_2)
	v_cmp_gt_u64_e32 vcc_lo, s[0:1], v[1:2]
	s_and_saveexec_b32 s1, vcc_lo
	s_cbranch_execz .LBB95_2
; %bb.1:
	v_lshlrev_b64 v[5:6], 3, v[1:2]
	s_delay_alu instid0(VALU_DEP_1) | instskip(NEXT) | instid1(VALU_DEP_2)
	v_add_co_u32 v3, vcc_lo, s4, v5
	v_add_co_ci_u32_e32 v4, vcc_lo, s5, v6, vcc_lo
	v_add_co_u32 v5, s0, s2, v5
	s_delay_alu instid0(VALU_DEP_1) | instskip(SKIP_4) | instid1(VALU_DEP_2)
	v_add_co_ci_u32_e64 v6, s0, s3, v6, s0
	global_load_b64 v[3:4], v[3:4], off
	s_waitcnt vmcnt(0)
	v_add_f64 v[7:8], v[3:4], -v[3:4]
	v_cvt_f32_f64_e32 v1, v[3:4]
	v_cmp_gt_f64_e32 vcc_lo, 0, v[7:8]
	v_xor_b32_e32 v9, 0x80000000, v8
	global_store_b64 v[5:6], v[1:2], off
	v_dual_cndmask_b32 v4, v8, v9 :: v_dual_cndmask_b32 v3, v7, v7
.LBB95_2:
	s_or_b32 exec_lo, exec_lo, s1
	v_lshlrev_b32_e32 v1, 3, v0
	s_mov_b32 s0, exec_lo
	ds_store_b64 v1, v[3:4]
	s_waitcnt lgkmcnt(0)
	s_waitcnt_vscnt null, 0x0
	s_barrier
	buffer_gl0_inv
	v_cmpx_gt_u32_e32 0x200, v0
	s_cbranch_execz .LBB95_4
; %bb.3:
	ds_load_2addr_stride64_b64 v[2:5], v1 offset1:8
	s_waitcnt lgkmcnt(0)
	v_cmp_lt_f64_e32 vcc_lo, v[2:3], v[4:5]
	v_dual_cndmask_b32 v3, v3, v5 :: v_dual_cndmask_b32 v2, v2, v4
	ds_store_b64 v1, v[2:3]
.LBB95_4:
	s_or_b32 exec_lo, exec_lo, s0
	s_delay_alu instid0(SALU_CYCLE_1)
	s_mov_b32 s0, exec_lo
	s_waitcnt lgkmcnt(0)
	s_barrier
	buffer_gl0_inv
	v_cmpx_gt_u32_e32 0x100, v0
	s_cbranch_execz .LBB95_6
; %bb.5:
	ds_load_2addr_stride64_b64 v[2:5], v1 offset1:4
	s_waitcnt lgkmcnt(0)
	v_cmp_lt_f64_e32 vcc_lo, v[2:3], v[4:5]
	v_dual_cndmask_b32 v3, v3, v5 :: v_dual_cndmask_b32 v2, v2, v4
	ds_store_b64 v1, v[2:3]
.LBB95_6:
	s_or_b32 exec_lo, exec_lo, s0
	s_delay_alu instid0(SALU_CYCLE_1)
	s_mov_b32 s0, exec_lo
	s_waitcnt lgkmcnt(0)
	;; [unrolled: 15-line block ×4, first 2 shown]
	s_barrier
	buffer_gl0_inv
	v_cmpx_gt_u32_e32 32, v0
	s_cbranch_execz .LBB95_12
; %bb.11:
	ds_load_2addr_b64 v[2:5], v1 offset1:32
	s_waitcnt lgkmcnt(0)
	v_cmp_lt_f64_e32 vcc_lo, v[2:3], v[4:5]
	v_dual_cndmask_b32 v3, v3, v5 :: v_dual_cndmask_b32 v2, v2, v4
	ds_store_b64 v1, v[2:3]
.LBB95_12:
	s_or_b32 exec_lo, exec_lo, s0
	s_delay_alu instid0(SALU_CYCLE_1)
	s_mov_b32 s0, exec_lo
	s_waitcnt lgkmcnt(0)
	s_barrier
	buffer_gl0_inv
	v_cmpx_gt_u32_e32 16, v0
	s_cbranch_execz .LBB95_14
; %bb.13:
	ds_load_2addr_b64 v[2:5], v1 offset1:16
	s_waitcnt lgkmcnt(0)
	v_cmp_lt_f64_e32 vcc_lo, v[2:3], v[4:5]
	v_dual_cndmask_b32 v3, v3, v5 :: v_dual_cndmask_b32 v2, v2, v4
	ds_store_b64 v1, v[2:3]
.LBB95_14:
	s_or_b32 exec_lo, exec_lo, s0
	s_delay_alu instid0(SALU_CYCLE_1)
	s_mov_b32 s0, exec_lo
	s_waitcnt lgkmcnt(0)
	;; [unrolled: 15-line block ×4, first 2 shown]
	s_barrier
	buffer_gl0_inv
	v_cmpx_gt_u32_e32 2, v0
	s_cbranch_execz .LBB95_20
; %bb.19:
	ds_load_2addr_b64 v[2:5], v1 offset1:2
	s_waitcnt lgkmcnt(0)
	v_cmp_lt_f64_e32 vcc_lo, v[2:3], v[4:5]
	v_dual_cndmask_b32 v3, v3, v5 :: v_dual_cndmask_b32 v2, v2, v4
	ds_store_b64 v1, v[2:3]
.LBB95_20:
	s_or_b32 exec_lo, exec_lo, s0
	v_cmp_eq_u32_e32 vcc_lo, 0, v0
	s_waitcnt lgkmcnt(0)
	s_barrier
	buffer_gl0_inv
	s_and_saveexec_b32 s1, vcc_lo
	s_cbranch_execz .LBB95_22
; %bb.21:
	v_mov_b32_e32 v4, 0
	ds_load_b128 v[0:3], v4
	s_waitcnt lgkmcnt(0)
	v_cmp_lt_f64_e64 s0, v[0:1], v[2:3]
	s_delay_alu instid0(VALU_DEP_1)
	v_cndmask_b32_e64 v1, v1, v3, s0
	v_cndmask_b32_e64 v0, v0, v2, s0
	ds_store_b64 v4, v[0:1]
.LBB95_22:
	s_or_b32 exec_lo, exec_lo, s1
	s_waitcnt lgkmcnt(0)
	s_barrier
	buffer_gl0_inv
	s_and_saveexec_b32 s0, vcc_lo
	s_cbranch_execz .LBB95_28
; %bb.23:
	v_mov_b32_e32 v6, 0
	s_brev_b32 s3, 1
	s_mov_b32 s2, 0
                                        ; implicit-def: $sgpr1
	ds_load_b64 v[0:1], v6
	global_load_b64 v[4:5], v6, s[6:7] glc
	s_waitcnt lgkmcnt(0)
	v_cmp_eq_f64_e32 vcc_lo, 0, v[0:1]
	s_waitcnt vmcnt(0)
	v_cmp_eq_u64_e64 s4, s[2:3], v[4:5]
                                        ; implicit-def: $sgpr3
	s_set_inst_prefetch_distance 0x1
	s_branch .LBB95_25
	.p2align	6
.LBB95_24:                              ;   in Loop: Header=BB95_25 Depth=1
	s_or_b32 exec_lo, exec_lo, s5
	s_delay_alu instid0(SALU_CYCLE_1) | instskip(NEXT) | instid1(SALU_CYCLE_1)
	s_and_b32 s0, exec_lo, s1
	s_or_b32 s2, s0, s2
	s_and_not1_b32 s0, s4, exec_lo
	s_and_b32 s4, s3, exec_lo
	s_delay_alu instid0(SALU_CYCLE_1)
	s_or_b32 s4, s0, s4
	s_and_not1_b32 exec_lo, exec_lo, s2
	s_cbranch_execz .LBB95_27
.LBB95_25:                              ; =>This Inner Loop Header: Depth=1
	v_dual_mov_b32 v2, v4 :: v_dual_mov_b32 v3, v5
	s_delay_alu instid0(VALU_DEP_2) | instskip(SKIP_2) | instid1(VALU_DEP_1)
	s_and_b32 s5, vcc_lo, s4
	s_and_not1_b32 s3, s3, exec_lo
	s_or_b32 s1, s1, exec_lo
                                        ; implicit-def: $vgpr4_vgpr5
	v_cmp_lt_f64_e64 s0, v[2:3], v[0:1]
	s_delay_alu instid0(VALU_DEP_1) | instskip(NEXT) | instid1(SALU_CYCLE_1)
	s_or_b32 s0, s0, s5
	s_and_saveexec_b32 s5, s0
	s_cbranch_execz .LBB95_24
; %bb.26:                               ;   in Loop: Header=BB95_25 Depth=1
	global_atomic_cmpswap_b64 v[4:5], v6, v[0:3], s[6:7] glc
	s_and_not1_b32 s3, s3, exec_lo
	s_and_not1_b32 s1, s1, exec_lo
	s_waitcnt vmcnt(0)
	v_cmp_eq_u64_e64 s0, v[4:5], v[2:3]
	s_delay_alu instid0(VALU_DEP_1) | instskip(SKIP_2) | instid1(SALU_CYCLE_1)
	v_cndmask_b32_e64 v8, v5, v3, s0
	v_cndmask_b32_e64 v7, v4, v2, s0
	s_and_b32 s0, s0, exec_lo
	s_or_b32 s1, s1, s0
	s_delay_alu instid0(VALU_DEP_1) | instskip(NEXT) | instid1(VALU_DEP_1)
	v_cmp_class_f64_e64 s4, v[7:8], 32
	s_and_b32 s4, s4, exec_lo
	s_delay_alu instid0(SALU_CYCLE_1)
	s_or_b32 s3, s3, s4
                                        ; implicit-def: $sgpr4
	s_branch .LBB95_24
.LBB95_27:
	s_set_inst_prefetch_distance 0x2
	s_or_b32 exec_lo, exec_lo, s2
	v_mov_b32_e32 v0, 0
	ds_store_b64 v0, v[2:3]
.LBB95_28:
	s_endpgm
	.section	.rodata,"a",@progbits
	.p2align	6, 0x0
	.amdhsa_kernel _ZN9rocsparse29copy_farray_mix_safe_kernel_tI21rocsparse_complex_numIfEdvE3runILj1024EEEvmPS2_PKdPd
		.amdhsa_group_segment_fixed_size 8192
		.amdhsa_private_segment_fixed_size 0
		.amdhsa_kernarg_size 32
		.amdhsa_user_sgpr_count 15
		.amdhsa_user_sgpr_dispatch_ptr 0
		.amdhsa_user_sgpr_queue_ptr 0
		.amdhsa_user_sgpr_kernarg_segment_ptr 1
		.amdhsa_user_sgpr_dispatch_id 0
		.amdhsa_user_sgpr_private_segment_size 0
		.amdhsa_wavefront_size32 1
		.amdhsa_uses_dynamic_stack 0
		.amdhsa_enable_private_segment 0
		.amdhsa_system_sgpr_workgroup_id_x 1
		.amdhsa_system_sgpr_workgroup_id_y 0
		.amdhsa_system_sgpr_workgroup_id_z 0
		.amdhsa_system_sgpr_workgroup_info 0
		.amdhsa_system_vgpr_workitem_id 0
		.amdhsa_next_free_vgpr 10
		.amdhsa_next_free_sgpr 16
		.amdhsa_reserve_vcc 1
		.amdhsa_float_round_mode_32 0
		.amdhsa_float_round_mode_16_64 0
		.amdhsa_float_denorm_mode_32 3
		.amdhsa_float_denorm_mode_16_64 3
		.amdhsa_dx10_clamp 1
		.amdhsa_ieee_mode 1
		.amdhsa_fp16_overflow 0
		.amdhsa_workgroup_processor_mode 1
		.amdhsa_memory_ordered 1
		.amdhsa_forward_progress 0
		.amdhsa_shared_vgpr_count 0
		.amdhsa_exception_fp_ieee_invalid_op 0
		.amdhsa_exception_fp_denorm_src 0
		.amdhsa_exception_fp_ieee_div_zero 0
		.amdhsa_exception_fp_ieee_overflow 0
		.amdhsa_exception_fp_ieee_underflow 0
		.amdhsa_exception_fp_ieee_inexact 0
		.amdhsa_exception_int_div_zero 0
	.end_amdhsa_kernel
	.section	.text._ZN9rocsparse29copy_farray_mix_safe_kernel_tI21rocsparse_complex_numIfEdvE3runILj1024EEEvmPS2_PKdPd,"axG",@progbits,_ZN9rocsparse29copy_farray_mix_safe_kernel_tI21rocsparse_complex_numIfEdvE3runILj1024EEEvmPS2_PKdPd,comdat
.Lfunc_end95:
	.size	_ZN9rocsparse29copy_farray_mix_safe_kernel_tI21rocsparse_complex_numIfEdvE3runILj1024EEEvmPS2_PKdPd, .Lfunc_end95-_ZN9rocsparse29copy_farray_mix_safe_kernel_tI21rocsparse_complex_numIfEdvE3runILj1024EEEvmPS2_PKdPd
                                        ; -- End function
	.section	.AMDGPU.csdata,"",@progbits
; Kernel info:
; codeLenInByte = 1144
; NumSgprs: 18
; NumVgprs: 10
; ScratchSize: 0
; MemoryBound: 0
; FloatMode: 240
; IeeeMode: 1
; LDSByteSize: 8192 bytes/workgroup (compile time only)
; SGPRBlocks: 2
; VGPRBlocks: 1
; NumSGPRsForWavesPerEU: 18
; NumVGPRsForWavesPerEU: 10
; Occupancy: 16
; WaveLimiterHint : 0
; COMPUTE_PGM_RSRC2:SCRATCH_EN: 0
; COMPUTE_PGM_RSRC2:USER_SGPR: 15
; COMPUTE_PGM_RSRC2:TRAP_HANDLER: 0
; COMPUTE_PGM_RSRC2:TGID_X_EN: 1
; COMPUTE_PGM_RSRC2:TGID_Y_EN: 0
; COMPUTE_PGM_RSRC2:TGID_Z_EN: 0
; COMPUTE_PGM_RSRC2:TIDIG_COMP_CNT: 0
	.section	.text._ZN9rocsparse29copy_farray_mix_safe_kernel_tI21rocsparse_complex_numIfES2_vE3runILj1024EEEvmPS2_PKS2_Pf,"axG",@progbits,_ZN9rocsparse29copy_farray_mix_safe_kernel_tI21rocsparse_complex_numIfES2_vE3runILj1024EEEvmPS2_PKS2_Pf,comdat
	.protected	_ZN9rocsparse29copy_farray_mix_safe_kernel_tI21rocsparse_complex_numIfES2_vE3runILj1024EEEvmPS2_PKS2_Pf ; -- Begin function _ZN9rocsparse29copy_farray_mix_safe_kernel_tI21rocsparse_complex_numIfES2_vE3runILj1024EEEvmPS2_PKS2_Pf
	.globl	_ZN9rocsparse29copy_farray_mix_safe_kernel_tI21rocsparse_complex_numIfES2_vE3runILj1024EEEvmPS2_PKS2_Pf
	.p2align	8
	.type	_ZN9rocsparse29copy_farray_mix_safe_kernel_tI21rocsparse_complex_numIfES2_vE3runILj1024EEEvmPS2_PKS2_Pf,@function
_ZN9rocsparse29copy_farray_mix_safe_kernel_tI21rocsparse_complex_numIfES2_vE3runILj1024EEEvmPS2_PKS2_Pf: ; @_ZN9rocsparse29copy_farray_mix_safe_kernel_tI21rocsparse_complex_numIfES2_vE3runILj1024EEEvmPS2_PKS2_Pf
; %bb.0:
	s_load_b128 s[4:7], s[0:1], 0x0
	v_lshl_or_b32 v0, s15, 10, v0
	v_mov_b32_e32 v1, 0
	s_mov_b32 s2, exec_lo
	s_waitcnt lgkmcnt(0)
	s_delay_alu instid0(VALU_DEP_1)
	v_cmpx_gt_u64_e64 s[4:5], v[0:1]
	s_cbranch_execz .LBB96_2
; %bb.1:
	s_load_b64 s[0:1], s[0:1], 0x10
	v_lshlrev_b64 v[0:1], 3, v[0:1]
	s_waitcnt lgkmcnt(0)
	s_delay_alu instid0(VALU_DEP_1) | instskip(NEXT) | instid1(VALU_DEP_2)
	v_add_co_u32 v2, vcc_lo, s0, v0
	v_add_co_ci_u32_e32 v3, vcc_lo, s1, v1, vcc_lo
	v_add_co_u32 v0, vcc_lo, s6, v0
	v_add_co_ci_u32_e32 v1, vcc_lo, s7, v1, vcc_lo
	global_load_b64 v[2:3], v[2:3], off
	s_waitcnt vmcnt(0)
	global_store_b64 v[0:1], v[2:3], off
.LBB96_2:
	s_nop 0
	s_sendmsg sendmsg(MSG_DEALLOC_VGPRS)
	s_endpgm
	.section	.rodata,"a",@progbits
	.p2align	6, 0x0
	.amdhsa_kernel _ZN9rocsparse29copy_farray_mix_safe_kernel_tI21rocsparse_complex_numIfES2_vE3runILj1024EEEvmPS2_PKS2_Pf
		.amdhsa_group_segment_fixed_size 0
		.amdhsa_private_segment_fixed_size 0
		.amdhsa_kernarg_size 32
		.amdhsa_user_sgpr_count 15
		.amdhsa_user_sgpr_dispatch_ptr 0
		.amdhsa_user_sgpr_queue_ptr 0
		.amdhsa_user_sgpr_kernarg_segment_ptr 1
		.amdhsa_user_sgpr_dispatch_id 0
		.amdhsa_user_sgpr_private_segment_size 0
		.amdhsa_wavefront_size32 1
		.amdhsa_uses_dynamic_stack 0
		.amdhsa_enable_private_segment 0
		.amdhsa_system_sgpr_workgroup_id_x 1
		.amdhsa_system_sgpr_workgroup_id_y 0
		.amdhsa_system_sgpr_workgroup_id_z 0
		.amdhsa_system_sgpr_workgroup_info 0
		.amdhsa_system_vgpr_workitem_id 0
		.amdhsa_next_free_vgpr 4
		.amdhsa_next_free_sgpr 16
		.amdhsa_reserve_vcc 1
		.amdhsa_float_round_mode_32 0
		.amdhsa_float_round_mode_16_64 0
		.amdhsa_float_denorm_mode_32 3
		.amdhsa_float_denorm_mode_16_64 3
		.amdhsa_dx10_clamp 1
		.amdhsa_ieee_mode 1
		.amdhsa_fp16_overflow 0
		.amdhsa_workgroup_processor_mode 1
		.amdhsa_memory_ordered 1
		.amdhsa_forward_progress 0
		.amdhsa_shared_vgpr_count 0
		.amdhsa_exception_fp_ieee_invalid_op 0
		.amdhsa_exception_fp_denorm_src 0
		.amdhsa_exception_fp_ieee_div_zero 0
		.amdhsa_exception_fp_ieee_overflow 0
		.amdhsa_exception_fp_ieee_underflow 0
		.amdhsa_exception_fp_ieee_inexact 0
		.amdhsa_exception_int_div_zero 0
	.end_amdhsa_kernel
	.section	.text._ZN9rocsparse29copy_farray_mix_safe_kernel_tI21rocsparse_complex_numIfES2_vE3runILj1024EEEvmPS2_PKS2_Pf,"axG",@progbits,_ZN9rocsparse29copy_farray_mix_safe_kernel_tI21rocsparse_complex_numIfES2_vE3runILj1024EEEvmPS2_PKS2_Pf,comdat
.Lfunc_end96:
	.size	_ZN9rocsparse29copy_farray_mix_safe_kernel_tI21rocsparse_complex_numIfES2_vE3runILj1024EEEvmPS2_PKS2_Pf, .Lfunc_end96-_ZN9rocsparse29copy_farray_mix_safe_kernel_tI21rocsparse_complex_numIfES2_vE3runILj1024EEEvmPS2_PKS2_Pf
                                        ; -- End function
	.section	.AMDGPU.csdata,"",@progbits
; Kernel info:
; codeLenInByte = 124
; NumSgprs: 18
; NumVgprs: 4
; ScratchSize: 0
; MemoryBound: 0
; FloatMode: 240
; IeeeMode: 1
; LDSByteSize: 0 bytes/workgroup (compile time only)
; SGPRBlocks: 2
; VGPRBlocks: 0
; NumSGPRsForWavesPerEU: 18
; NumVGPRsForWavesPerEU: 4
; Occupancy: 16
; WaveLimiterHint : 0
; COMPUTE_PGM_RSRC2:SCRATCH_EN: 0
; COMPUTE_PGM_RSRC2:USER_SGPR: 15
; COMPUTE_PGM_RSRC2:TRAP_HANDLER: 0
; COMPUTE_PGM_RSRC2:TGID_X_EN: 1
; COMPUTE_PGM_RSRC2:TGID_Y_EN: 0
; COMPUTE_PGM_RSRC2:TGID_Z_EN: 0
; COMPUTE_PGM_RSRC2:TIDIG_COMP_CNT: 0
	.section	.text._ZN9rocsparse29copy_farray_mix_safe_kernel_tI21rocsparse_complex_numIfES1_IdEvE3runILj1024EEEvmPS2_PKS3_Pd,"axG",@progbits,_ZN9rocsparse29copy_farray_mix_safe_kernel_tI21rocsparse_complex_numIfES1_IdEvE3runILj1024EEEvmPS2_PKS3_Pd,comdat
	.protected	_ZN9rocsparse29copy_farray_mix_safe_kernel_tI21rocsparse_complex_numIfES1_IdEvE3runILj1024EEEvmPS2_PKS3_Pd ; -- Begin function _ZN9rocsparse29copy_farray_mix_safe_kernel_tI21rocsparse_complex_numIfES1_IdEvE3runILj1024EEEvmPS2_PKS3_Pd
	.globl	_ZN9rocsparse29copy_farray_mix_safe_kernel_tI21rocsparse_complex_numIfES1_IdEvE3runILj1024EEEvmPS2_PKS3_Pd
	.p2align	8
	.type	_ZN9rocsparse29copy_farray_mix_safe_kernel_tI21rocsparse_complex_numIfES1_IdEvE3runILj1024EEEvmPS2_PKS3_Pd,@function
_ZN9rocsparse29copy_farray_mix_safe_kernel_tI21rocsparse_complex_numIfES1_IdEvE3runILj1024EEEvmPS2_PKS3_Pd: ; @_ZN9rocsparse29copy_farray_mix_safe_kernel_tI21rocsparse_complex_numIfES1_IdEvE3runILj1024EEEvmPS2_PKS3_Pd
; %bb.0:
	s_load_b256 s[0:7], s[0:1], 0x0
	v_lshl_or_b32 v1, s15, 10, v0
	v_dual_mov_b32 v2, 0 :: v_dual_lshlrev_b32 v13, 3, v0
	s_waitcnt lgkmcnt(0)
	s_delay_alu instid0(VALU_DEP_1) | instskip(SKIP_1) | instid1(SALU_CYCLE_1)
	v_cmp_le_u64_e32 vcc_lo, s[0:1], v[1:2]
	s_and_saveexec_b32 s0, vcc_lo
	s_xor_b32 s0, exec_lo, s0
	s_cbranch_execz .LBB97_2
; %bb.1:
	v_mov_b32_e32 v1, v2
	ds_store_b64 v13, v[1:2]
                                        ; implicit-def: $vgpr1_vgpr2
.LBB97_2:
	s_and_not1_saveexec_b32 s1, s0
	s_cbranch_execz .LBB97_10
; %bb.3:
	v_lshlrev_b64 v[3:4], 4, v[1:2]
	s_delay_alu instid0(VALU_DEP_1) | instskip(NEXT) | instid1(VALU_DEP_2)
	v_add_co_u32 v3, vcc_lo, s4, v3
	v_add_co_ci_u32_e32 v4, vcc_lo, s5, v4, vcc_lo
	global_load_b128 v[5:8], v[3:4], off
	s_waitcnt vmcnt(0)
	v_cvt_f32_f64_e32 v3, v[5:6]
	v_cvt_f32_f64_e32 v4, v[7:8]
	s_delay_alu instid0(VALU_DEP_2) | instskip(NEXT) | instid1(VALU_DEP_2)
	v_cvt_f64_f32_e32 v[9:10], v3
	v_cvt_f64_f32_e32 v[11:12], v4
	s_delay_alu instid0(VALU_DEP_2) | instskip(NEXT) | instid1(VALU_DEP_2)
	v_add_f64 v[5:6], v[5:6], -v[9:10]
	v_add_f64 v[11:12], v[7:8], -v[11:12]
                                        ; implicit-def: $vgpr9_vgpr10
	s_delay_alu instid0(VALU_DEP_2) | instskip(NEXT) | instid1(VALU_DEP_2)
	v_cmp_gt_f64_e32 vcc_lo, 0, v[5:6]
	v_cmp_gt_f64_e64 s0, 0, v[11:12]
	v_xor_b32_e32 v7, 0x80000000, v6
	v_xor_b32_e32 v8, 0x80000000, v12
	s_delay_alu instid0(VALU_DEP_2) | instskip(NEXT) | instid1(VALU_DEP_2)
	v_dual_cndmask_b32 v6, v6, v7 :: v_dual_cndmask_b32 v5, v5, v5
	v_cndmask_b32_e64 v8, v12, v8, s0
	v_cndmask_b32_e64 v7, v11, v11, s0
	s_mov_b32 s0, exec_lo
	s_delay_alu instid0(VALU_DEP_1)
	v_cmpx_ngt_f64_e32 v[5:6], v[7:8]
	s_xor_b32 s0, exec_lo, s0
	s_cbranch_execz .LBB97_7
; %bb.4:
	v_mov_b32_e32 v9, 0
	v_mov_b32_e32 v10, 0
	s_mov_b32 s4, exec_lo
	v_cmpx_neq_f64_e32 0, v[11:12]
	s_cbranch_execz .LBB97_6
; %bb.5:
	v_div_scale_f64 v[9:10], null, v[7:8], v[7:8], v[5:6]
	v_div_scale_f64 v[16:17], vcc_lo, v[5:6], v[7:8], v[5:6]
	s_delay_alu instid0(VALU_DEP_2) | instskip(SKIP_2) | instid1(VALU_DEP_1)
	v_rcp_f64_e32 v[11:12], v[9:10]
	s_waitcnt_depctr 0xfff
	v_fma_f64 v[14:15], -v[9:10], v[11:12], 1.0
	v_fma_f64 v[11:12], v[11:12], v[14:15], v[11:12]
	s_delay_alu instid0(VALU_DEP_1) | instskip(NEXT) | instid1(VALU_DEP_1)
	v_fma_f64 v[14:15], -v[9:10], v[11:12], 1.0
	v_fma_f64 v[11:12], v[11:12], v[14:15], v[11:12]
	s_delay_alu instid0(VALU_DEP_1) | instskip(NEXT) | instid1(VALU_DEP_1)
	v_mul_f64 v[14:15], v[16:17], v[11:12]
	v_fma_f64 v[9:10], -v[9:10], v[14:15], v[16:17]
	s_delay_alu instid0(VALU_DEP_1) | instskip(NEXT) | instid1(VALU_DEP_1)
	v_div_fmas_f64 v[9:10], v[9:10], v[11:12], v[14:15]
	v_div_fixup_f64 v[5:6], v[9:10], v[7:8], v[5:6]
	s_delay_alu instid0(VALU_DEP_1) | instskip(NEXT) | instid1(VALU_DEP_1)
	v_fma_f64 v[5:6], v[5:6], v[5:6], 1.0
	v_cmp_gt_f64_e32 vcc_lo, 0x10000000, v[5:6]
	v_cndmask_b32_e64 v9, 0, 1, vcc_lo
	s_delay_alu instid0(VALU_DEP_1) | instskip(NEXT) | instid1(VALU_DEP_1)
	v_lshlrev_b32_e32 v9, 8, v9
	v_ldexp_f64 v[5:6], v[5:6], v9
	s_delay_alu instid0(VALU_DEP_1) | instskip(SKIP_3) | instid1(VALU_DEP_1)
	v_rsq_f64_e32 v[9:10], v[5:6]
	s_waitcnt_depctr 0xfff
	v_mul_f64 v[11:12], v[5:6], v[9:10]
	v_mul_f64 v[9:10], v[9:10], 0.5
	v_fma_f64 v[14:15], -v[9:10], v[11:12], 0.5
	s_delay_alu instid0(VALU_DEP_1) | instskip(SKIP_1) | instid1(VALU_DEP_2)
	v_fma_f64 v[11:12], v[11:12], v[14:15], v[11:12]
	v_fma_f64 v[9:10], v[9:10], v[14:15], v[9:10]
	v_fma_f64 v[14:15], -v[11:12], v[11:12], v[5:6]
	s_delay_alu instid0(VALU_DEP_1) | instskip(NEXT) | instid1(VALU_DEP_1)
	v_fma_f64 v[11:12], v[14:15], v[9:10], v[11:12]
	v_fma_f64 v[14:15], -v[11:12], v[11:12], v[5:6]
	s_delay_alu instid0(VALU_DEP_1) | instskip(SKIP_2) | instid1(VALU_DEP_2)
	v_fma_f64 v[9:10], v[14:15], v[9:10], v[11:12]
	v_cndmask_b32_e64 v11, 0, 0xffffff80, vcc_lo
	v_cmp_class_f64_e64 vcc_lo, v[5:6], 0x260
	v_ldexp_f64 v[9:10], v[9:10], v11
	s_delay_alu instid0(VALU_DEP_1) | instskip(NEXT) | instid1(VALU_DEP_1)
	v_dual_cndmask_b32 v6, v10, v6 :: v_dual_cndmask_b32 v5, v9, v5
	v_mul_f64 v[9:10], v[7:8], v[5:6]
.LBB97_6:
	s_or_b32 exec_lo, exec_lo, s4
                                        ; implicit-def: $vgpr5_vgpr6
                                        ; implicit-def: $vgpr7_vgpr8
.LBB97_7:
	s_and_not1_saveexec_b32 s0, s0
	s_cbranch_execz .LBB97_9
; %bb.8:
	v_div_scale_f64 v[9:10], null, v[5:6], v[5:6], v[7:8]
	v_div_scale_f64 v[16:17], vcc_lo, v[7:8], v[5:6], v[7:8]
	s_delay_alu instid0(VALU_DEP_2) | instskip(SKIP_2) | instid1(VALU_DEP_1)
	v_rcp_f64_e32 v[11:12], v[9:10]
	s_waitcnt_depctr 0xfff
	v_fma_f64 v[14:15], -v[9:10], v[11:12], 1.0
	v_fma_f64 v[11:12], v[11:12], v[14:15], v[11:12]
	s_delay_alu instid0(VALU_DEP_1) | instskip(NEXT) | instid1(VALU_DEP_1)
	v_fma_f64 v[14:15], -v[9:10], v[11:12], 1.0
	v_fma_f64 v[11:12], v[11:12], v[14:15], v[11:12]
	s_delay_alu instid0(VALU_DEP_1) | instskip(NEXT) | instid1(VALU_DEP_1)
	v_mul_f64 v[14:15], v[16:17], v[11:12]
	v_fma_f64 v[9:10], -v[9:10], v[14:15], v[16:17]
	s_delay_alu instid0(VALU_DEP_1) | instskip(NEXT) | instid1(VALU_DEP_1)
	v_div_fmas_f64 v[9:10], v[9:10], v[11:12], v[14:15]
	v_div_fixup_f64 v[7:8], v[9:10], v[5:6], v[7:8]
	s_delay_alu instid0(VALU_DEP_1) | instskip(NEXT) | instid1(VALU_DEP_1)
	v_fma_f64 v[7:8], v[7:8], v[7:8], 1.0
	v_cmp_gt_f64_e32 vcc_lo, 0x10000000, v[7:8]
	v_cndmask_b32_e64 v9, 0, 1, vcc_lo
	s_delay_alu instid0(VALU_DEP_1) | instskip(NEXT) | instid1(VALU_DEP_1)
	v_lshlrev_b32_e32 v9, 8, v9
	v_ldexp_f64 v[7:8], v[7:8], v9
	s_delay_alu instid0(VALU_DEP_1) | instskip(SKIP_3) | instid1(VALU_DEP_1)
	v_rsq_f64_e32 v[9:10], v[7:8]
	s_waitcnt_depctr 0xfff
	v_mul_f64 v[11:12], v[7:8], v[9:10]
	v_mul_f64 v[9:10], v[9:10], 0.5
	v_fma_f64 v[14:15], -v[9:10], v[11:12], 0.5
	s_delay_alu instid0(VALU_DEP_1) | instskip(SKIP_1) | instid1(VALU_DEP_2)
	v_fma_f64 v[11:12], v[11:12], v[14:15], v[11:12]
	v_fma_f64 v[9:10], v[9:10], v[14:15], v[9:10]
	v_fma_f64 v[14:15], -v[11:12], v[11:12], v[7:8]
	s_delay_alu instid0(VALU_DEP_1) | instskip(NEXT) | instid1(VALU_DEP_1)
	v_fma_f64 v[11:12], v[14:15], v[9:10], v[11:12]
	v_fma_f64 v[14:15], -v[11:12], v[11:12], v[7:8]
	s_delay_alu instid0(VALU_DEP_1) | instskip(SKIP_2) | instid1(VALU_DEP_2)
	v_fma_f64 v[9:10], v[14:15], v[9:10], v[11:12]
	v_cndmask_b32_e64 v11, 0, 0xffffff80, vcc_lo
	v_cmp_class_f64_e64 vcc_lo, v[7:8], 0x260
	v_ldexp_f64 v[9:10], v[9:10], v11
	s_delay_alu instid0(VALU_DEP_1) | instskip(NEXT) | instid1(VALU_DEP_1)
	v_dual_cndmask_b32 v8, v10, v8 :: v_dual_cndmask_b32 v7, v9, v7
	v_mul_f64 v[9:10], v[5:6], v[7:8]
.LBB97_9:
	s_or_b32 exec_lo, exec_lo, s0
	v_lshlrev_b64 v[1:2], 3, v[1:2]
	ds_store_b64 v13, v[9:10]
	v_add_co_u32 v1, vcc_lo, s2, v1
	v_add_co_ci_u32_e32 v2, vcc_lo, s3, v2, vcc_lo
	global_store_b64 v[1:2], v[3:4], off
.LBB97_10:
	s_or_b32 exec_lo, exec_lo, s1
	s_delay_alu instid0(SALU_CYCLE_1)
	s_mov_b32 s0, exec_lo
	s_waitcnt lgkmcnt(0)
	s_waitcnt_vscnt null, 0x0
	s_barrier
	buffer_gl0_inv
	v_cmpx_gt_u32_e32 0x200, v0
	s_cbranch_execz .LBB97_12
; %bb.11:
	ds_load_2addr_stride64_b64 v[1:4], v13 offset1:8
	s_waitcnt lgkmcnt(0)
	v_cmp_lt_f64_e32 vcc_lo, v[1:2], v[3:4]
	v_dual_cndmask_b32 v2, v2, v4 :: v_dual_cndmask_b32 v1, v1, v3
	ds_store_b64 v13, v[1:2]
.LBB97_12:
	s_or_b32 exec_lo, exec_lo, s0
	s_delay_alu instid0(SALU_CYCLE_1)
	s_mov_b32 s0, exec_lo
	s_waitcnt lgkmcnt(0)
	s_barrier
	buffer_gl0_inv
	v_cmpx_gt_u32_e32 0x100, v0
	s_cbranch_execz .LBB97_14
; %bb.13:
	ds_load_2addr_stride64_b64 v[1:4], v13 offset1:4
	s_waitcnt lgkmcnt(0)
	v_cmp_lt_f64_e32 vcc_lo, v[1:2], v[3:4]
	v_dual_cndmask_b32 v2, v2, v4 :: v_dual_cndmask_b32 v1, v1, v3
	ds_store_b64 v13, v[1:2]
.LBB97_14:
	s_or_b32 exec_lo, exec_lo, s0
	s_delay_alu instid0(SALU_CYCLE_1)
	s_mov_b32 s0, exec_lo
	s_waitcnt lgkmcnt(0)
	;; [unrolled: 15-line block ×4, first 2 shown]
	s_barrier
	buffer_gl0_inv
	v_cmpx_gt_u32_e32 32, v0
	s_cbranch_execz .LBB97_20
; %bb.19:
	ds_load_2addr_b64 v[1:4], v13 offset1:32
	s_waitcnt lgkmcnt(0)
	v_cmp_lt_f64_e32 vcc_lo, v[1:2], v[3:4]
	v_dual_cndmask_b32 v2, v2, v4 :: v_dual_cndmask_b32 v1, v1, v3
	ds_store_b64 v13, v[1:2]
.LBB97_20:
	s_or_b32 exec_lo, exec_lo, s0
	s_delay_alu instid0(SALU_CYCLE_1)
	s_mov_b32 s0, exec_lo
	s_waitcnt lgkmcnt(0)
	s_barrier
	buffer_gl0_inv
	v_cmpx_gt_u32_e32 16, v0
	s_cbranch_execz .LBB97_22
; %bb.21:
	ds_load_2addr_b64 v[1:4], v13 offset1:16
	s_waitcnt lgkmcnt(0)
	v_cmp_lt_f64_e32 vcc_lo, v[1:2], v[3:4]
	v_dual_cndmask_b32 v2, v2, v4 :: v_dual_cndmask_b32 v1, v1, v3
	ds_store_b64 v13, v[1:2]
.LBB97_22:
	s_or_b32 exec_lo, exec_lo, s0
	s_delay_alu instid0(SALU_CYCLE_1)
	s_mov_b32 s0, exec_lo
	s_waitcnt lgkmcnt(0)
	;; [unrolled: 15-line block ×4, first 2 shown]
	s_barrier
	buffer_gl0_inv
	v_cmpx_gt_u32_e32 2, v0
	s_cbranch_execz .LBB97_28
; %bb.27:
	ds_load_2addr_b64 v[1:4], v13 offset1:2
	s_waitcnt lgkmcnt(0)
	v_cmp_lt_f64_e32 vcc_lo, v[1:2], v[3:4]
	v_dual_cndmask_b32 v2, v2, v4 :: v_dual_cndmask_b32 v1, v1, v3
	ds_store_b64 v13, v[1:2]
.LBB97_28:
	s_or_b32 exec_lo, exec_lo, s0
	v_cmp_eq_u32_e32 vcc_lo, 0, v0
	s_waitcnt lgkmcnt(0)
	s_barrier
	buffer_gl0_inv
	s_and_saveexec_b32 s1, vcc_lo
	s_cbranch_execz .LBB97_30
; %bb.29:
	v_mov_b32_e32 v4, 0
	ds_load_b128 v[0:3], v4
	s_waitcnt lgkmcnt(0)
	v_cmp_lt_f64_e64 s0, v[0:1], v[2:3]
	s_delay_alu instid0(VALU_DEP_1)
	v_cndmask_b32_e64 v1, v1, v3, s0
	v_cndmask_b32_e64 v0, v0, v2, s0
	ds_store_b64 v4, v[0:1]
.LBB97_30:
	s_or_b32 exec_lo, exec_lo, s1
	s_waitcnt lgkmcnt(0)
	s_barrier
	buffer_gl0_inv
	s_and_saveexec_b32 s0, vcc_lo
	s_cbranch_execz .LBB97_36
; %bb.31:
	v_mov_b32_e32 v6, 0
	s_brev_b32 s3, 1
	s_mov_b32 s2, 0
                                        ; implicit-def: $sgpr1
	ds_load_b64 v[0:1], v6
	global_load_b64 v[4:5], v6, s[6:7] glc
	s_waitcnt lgkmcnt(0)
	v_cmp_eq_f64_e32 vcc_lo, 0, v[0:1]
	s_waitcnt vmcnt(0)
	v_cmp_eq_u64_e64 s4, s[2:3], v[4:5]
                                        ; implicit-def: $sgpr3
	s_set_inst_prefetch_distance 0x1
	s_branch .LBB97_33
	.p2align	6
.LBB97_32:                              ;   in Loop: Header=BB97_33 Depth=1
	s_or_b32 exec_lo, exec_lo, s5
	s_delay_alu instid0(SALU_CYCLE_1) | instskip(NEXT) | instid1(SALU_CYCLE_1)
	s_and_b32 s0, exec_lo, s1
	s_or_b32 s2, s0, s2
	s_and_not1_b32 s0, s4, exec_lo
	s_and_b32 s4, s3, exec_lo
	s_delay_alu instid0(SALU_CYCLE_1)
	s_or_b32 s4, s0, s4
	s_and_not1_b32 exec_lo, exec_lo, s2
	s_cbranch_execz .LBB97_35
.LBB97_33:                              ; =>This Inner Loop Header: Depth=1
	v_dual_mov_b32 v2, v4 :: v_dual_mov_b32 v3, v5
	s_delay_alu instid0(VALU_DEP_2) | instskip(SKIP_2) | instid1(VALU_DEP_1)
	s_and_b32 s5, vcc_lo, s4
	s_and_not1_b32 s3, s3, exec_lo
	s_or_b32 s1, s1, exec_lo
                                        ; implicit-def: $vgpr4_vgpr5
	v_cmp_lt_f64_e64 s0, v[2:3], v[0:1]
	s_delay_alu instid0(VALU_DEP_1) | instskip(NEXT) | instid1(SALU_CYCLE_1)
	s_or_b32 s0, s0, s5
	s_and_saveexec_b32 s5, s0
	s_cbranch_execz .LBB97_32
; %bb.34:                               ;   in Loop: Header=BB97_33 Depth=1
	global_atomic_cmpswap_b64 v[4:5], v6, v[0:3], s[6:7] glc
	s_and_not1_b32 s3, s3, exec_lo
	s_and_not1_b32 s1, s1, exec_lo
	s_waitcnt vmcnt(0)
	v_cmp_eq_u64_e64 s0, v[4:5], v[2:3]
	s_delay_alu instid0(VALU_DEP_1) | instskip(SKIP_2) | instid1(SALU_CYCLE_1)
	v_cndmask_b32_e64 v8, v5, v3, s0
	v_cndmask_b32_e64 v7, v4, v2, s0
	s_and_b32 s0, s0, exec_lo
	s_or_b32 s1, s1, s0
	s_delay_alu instid0(VALU_DEP_1) | instskip(NEXT) | instid1(VALU_DEP_1)
	v_cmp_class_f64_e64 s4, v[7:8], 32
	s_and_b32 s4, s4, exec_lo
	s_delay_alu instid0(SALU_CYCLE_1)
	s_or_b32 s3, s3, s4
                                        ; implicit-def: $sgpr4
	s_branch .LBB97_32
.LBB97_35:
	s_set_inst_prefetch_distance 0x2
	s_or_b32 exec_lo, exec_lo, s2
	v_mov_b32_e32 v0, 0
	ds_store_b64 v0, v[2:3]
.LBB97_36:
	s_endpgm
	.section	.rodata,"a",@progbits
	.p2align	6, 0x0
	.amdhsa_kernel _ZN9rocsparse29copy_farray_mix_safe_kernel_tI21rocsparse_complex_numIfES1_IdEvE3runILj1024EEEvmPS2_PKS3_Pd
		.amdhsa_group_segment_fixed_size 8192
		.amdhsa_private_segment_fixed_size 0
		.amdhsa_kernarg_size 32
		.amdhsa_user_sgpr_count 15
		.amdhsa_user_sgpr_dispatch_ptr 0
		.amdhsa_user_sgpr_queue_ptr 0
		.amdhsa_user_sgpr_kernarg_segment_ptr 1
		.amdhsa_user_sgpr_dispatch_id 0
		.amdhsa_user_sgpr_private_segment_size 0
		.amdhsa_wavefront_size32 1
		.amdhsa_uses_dynamic_stack 0
		.amdhsa_enable_private_segment 0
		.amdhsa_system_sgpr_workgroup_id_x 1
		.amdhsa_system_sgpr_workgroup_id_y 0
		.amdhsa_system_sgpr_workgroup_id_z 0
		.amdhsa_system_sgpr_workgroup_info 0
		.amdhsa_system_vgpr_workitem_id 0
		.amdhsa_next_free_vgpr 18
		.amdhsa_next_free_sgpr 16
		.amdhsa_reserve_vcc 1
		.amdhsa_float_round_mode_32 0
		.amdhsa_float_round_mode_16_64 0
		.amdhsa_float_denorm_mode_32 3
		.amdhsa_float_denorm_mode_16_64 3
		.amdhsa_dx10_clamp 1
		.amdhsa_ieee_mode 1
		.amdhsa_fp16_overflow 0
		.amdhsa_workgroup_processor_mode 1
		.amdhsa_memory_ordered 1
		.amdhsa_forward_progress 0
		.amdhsa_shared_vgpr_count 0
		.amdhsa_exception_fp_ieee_invalid_op 0
		.amdhsa_exception_fp_denorm_src 0
		.amdhsa_exception_fp_ieee_div_zero 0
		.amdhsa_exception_fp_ieee_overflow 0
		.amdhsa_exception_fp_ieee_underflow 0
		.amdhsa_exception_fp_ieee_inexact 0
		.amdhsa_exception_int_div_zero 0
	.end_amdhsa_kernel
	.section	.text._ZN9rocsparse29copy_farray_mix_safe_kernel_tI21rocsparse_complex_numIfES1_IdEvE3runILj1024EEEvmPS2_PKS3_Pd,"axG",@progbits,_ZN9rocsparse29copy_farray_mix_safe_kernel_tI21rocsparse_complex_numIfES1_IdEvE3runILj1024EEEvmPS2_PKS3_Pd,comdat
.Lfunc_end97:
	.size	_ZN9rocsparse29copy_farray_mix_safe_kernel_tI21rocsparse_complex_numIfES1_IdEvE3runILj1024EEEvmPS2_PKS3_Pd, .Lfunc_end97-_ZN9rocsparse29copy_farray_mix_safe_kernel_tI21rocsparse_complex_numIfES1_IdEvE3runILj1024EEEvmPS2_PKS3_Pd
                                        ; -- End function
	.section	.AMDGPU.csdata,"",@progbits
; Kernel info:
; codeLenInByte = 1880
; NumSgprs: 18
; NumVgprs: 18
; ScratchSize: 0
; MemoryBound: 0
; FloatMode: 240
; IeeeMode: 1
; LDSByteSize: 8192 bytes/workgroup (compile time only)
; SGPRBlocks: 2
; VGPRBlocks: 2
; NumSGPRsForWavesPerEU: 18
; NumVGPRsForWavesPerEU: 18
; Occupancy: 16
; WaveLimiterHint : 0
; COMPUTE_PGM_RSRC2:SCRATCH_EN: 0
; COMPUTE_PGM_RSRC2:USER_SGPR: 15
; COMPUTE_PGM_RSRC2:TRAP_HANDLER: 0
; COMPUTE_PGM_RSRC2:TGID_X_EN: 1
; COMPUTE_PGM_RSRC2:TGID_Y_EN: 0
; COMPUTE_PGM_RSRC2:TGID_Z_EN: 0
; COMPUTE_PGM_RSRC2:TIDIG_COMP_CNT: 0
	.section	.text._ZN9rocsparse29copy_farray_mix_safe_kernel_tI21rocsparse_complex_numIdEavE3runILj1024EEEvmPS2_PKaPa,"axG",@progbits,_ZN9rocsparse29copy_farray_mix_safe_kernel_tI21rocsparse_complex_numIdEavE3runILj1024EEEvmPS2_PKaPa,comdat
	.protected	_ZN9rocsparse29copy_farray_mix_safe_kernel_tI21rocsparse_complex_numIdEavE3runILj1024EEEvmPS2_PKaPa ; -- Begin function _ZN9rocsparse29copy_farray_mix_safe_kernel_tI21rocsparse_complex_numIdEavE3runILj1024EEEvmPS2_PKaPa
	.globl	_ZN9rocsparse29copy_farray_mix_safe_kernel_tI21rocsparse_complex_numIdEavE3runILj1024EEEvmPS2_PKaPa
	.p2align	8
	.type	_ZN9rocsparse29copy_farray_mix_safe_kernel_tI21rocsparse_complex_numIdEavE3runILj1024EEEvmPS2_PKaPa,@function
_ZN9rocsparse29copy_farray_mix_safe_kernel_tI21rocsparse_complex_numIdEavE3runILj1024EEEvmPS2_PKaPa: ; @_ZN9rocsparse29copy_farray_mix_safe_kernel_tI21rocsparse_complex_numIdEavE3runILj1024EEEvmPS2_PKaPa
; %bb.0:
	s_endpgm
	.section	.rodata,"a",@progbits
	.p2align	6, 0x0
	.amdhsa_kernel _ZN9rocsparse29copy_farray_mix_safe_kernel_tI21rocsparse_complex_numIdEavE3runILj1024EEEvmPS2_PKaPa
		.amdhsa_group_segment_fixed_size 0
		.amdhsa_private_segment_fixed_size 0
		.amdhsa_kernarg_size 32
		.amdhsa_user_sgpr_count 15
		.amdhsa_user_sgpr_dispatch_ptr 0
		.amdhsa_user_sgpr_queue_ptr 0
		.amdhsa_user_sgpr_kernarg_segment_ptr 1
		.amdhsa_user_sgpr_dispatch_id 0
		.amdhsa_user_sgpr_private_segment_size 0
		.amdhsa_wavefront_size32 1
		.amdhsa_uses_dynamic_stack 0
		.amdhsa_enable_private_segment 0
		.amdhsa_system_sgpr_workgroup_id_x 1
		.amdhsa_system_sgpr_workgroup_id_y 0
		.amdhsa_system_sgpr_workgroup_id_z 0
		.amdhsa_system_sgpr_workgroup_info 0
		.amdhsa_system_vgpr_workitem_id 0
		.amdhsa_next_free_vgpr 1
		.amdhsa_next_free_sgpr 1
		.amdhsa_reserve_vcc 0
		.amdhsa_float_round_mode_32 0
		.amdhsa_float_round_mode_16_64 0
		.amdhsa_float_denorm_mode_32 3
		.amdhsa_float_denorm_mode_16_64 3
		.amdhsa_dx10_clamp 1
		.amdhsa_ieee_mode 1
		.amdhsa_fp16_overflow 0
		.amdhsa_workgroup_processor_mode 1
		.amdhsa_memory_ordered 1
		.amdhsa_forward_progress 0
		.amdhsa_shared_vgpr_count 0
		.amdhsa_exception_fp_ieee_invalid_op 0
		.amdhsa_exception_fp_denorm_src 0
		.amdhsa_exception_fp_ieee_div_zero 0
		.amdhsa_exception_fp_ieee_overflow 0
		.amdhsa_exception_fp_ieee_underflow 0
		.amdhsa_exception_fp_ieee_inexact 0
		.amdhsa_exception_int_div_zero 0
	.end_amdhsa_kernel
	.section	.text._ZN9rocsparse29copy_farray_mix_safe_kernel_tI21rocsparse_complex_numIdEavE3runILj1024EEEvmPS2_PKaPa,"axG",@progbits,_ZN9rocsparse29copy_farray_mix_safe_kernel_tI21rocsparse_complex_numIdEavE3runILj1024EEEvmPS2_PKaPa,comdat
.Lfunc_end98:
	.size	_ZN9rocsparse29copy_farray_mix_safe_kernel_tI21rocsparse_complex_numIdEavE3runILj1024EEEvmPS2_PKaPa, .Lfunc_end98-_ZN9rocsparse29copy_farray_mix_safe_kernel_tI21rocsparse_complex_numIdEavE3runILj1024EEEvmPS2_PKaPa
                                        ; -- End function
	.section	.AMDGPU.csdata,"",@progbits
; Kernel info:
; codeLenInByte = 4
; NumSgprs: 0
; NumVgprs: 0
; ScratchSize: 0
; MemoryBound: 0
; FloatMode: 240
; IeeeMode: 1
; LDSByteSize: 0 bytes/workgroup (compile time only)
; SGPRBlocks: 0
; VGPRBlocks: 0
; NumSGPRsForWavesPerEU: 1
; NumVGPRsForWavesPerEU: 1
; Occupancy: 16
; WaveLimiterHint : 0
; COMPUTE_PGM_RSRC2:SCRATCH_EN: 0
; COMPUTE_PGM_RSRC2:USER_SGPR: 15
; COMPUTE_PGM_RSRC2:TRAP_HANDLER: 0
; COMPUTE_PGM_RSRC2:TGID_X_EN: 1
; COMPUTE_PGM_RSRC2:TGID_Y_EN: 0
; COMPUTE_PGM_RSRC2:TGID_Z_EN: 0
; COMPUTE_PGM_RSRC2:TIDIG_COMP_CNT: 0
	.section	.text._ZN9rocsparse29copy_farray_mix_safe_kernel_tI21rocsparse_complex_numIdEhvE3runILj1024EEEvmPS2_PKhPh,"axG",@progbits,_ZN9rocsparse29copy_farray_mix_safe_kernel_tI21rocsparse_complex_numIdEhvE3runILj1024EEEvmPS2_PKhPh,comdat
	.protected	_ZN9rocsparse29copy_farray_mix_safe_kernel_tI21rocsparse_complex_numIdEhvE3runILj1024EEEvmPS2_PKhPh ; -- Begin function _ZN9rocsparse29copy_farray_mix_safe_kernel_tI21rocsparse_complex_numIdEhvE3runILj1024EEEvmPS2_PKhPh
	.globl	_ZN9rocsparse29copy_farray_mix_safe_kernel_tI21rocsparse_complex_numIdEhvE3runILj1024EEEvmPS2_PKhPh
	.p2align	8
	.type	_ZN9rocsparse29copy_farray_mix_safe_kernel_tI21rocsparse_complex_numIdEhvE3runILj1024EEEvmPS2_PKhPh,@function
_ZN9rocsparse29copy_farray_mix_safe_kernel_tI21rocsparse_complex_numIdEhvE3runILj1024EEEvmPS2_PKhPh: ; @_ZN9rocsparse29copy_farray_mix_safe_kernel_tI21rocsparse_complex_numIdEhvE3runILj1024EEEvmPS2_PKhPh
; %bb.0:
	s_endpgm
	.section	.rodata,"a",@progbits
	.p2align	6, 0x0
	.amdhsa_kernel _ZN9rocsparse29copy_farray_mix_safe_kernel_tI21rocsparse_complex_numIdEhvE3runILj1024EEEvmPS2_PKhPh
		.amdhsa_group_segment_fixed_size 0
		.amdhsa_private_segment_fixed_size 0
		.amdhsa_kernarg_size 32
		.amdhsa_user_sgpr_count 15
		.amdhsa_user_sgpr_dispatch_ptr 0
		.amdhsa_user_sgpr_queue_ptr 0
		.amdhsa_user_sgpr_kernarg_segment_ptr 1
		.amdhsa_user_sgpr_dispatch_id 0
		.amdhsa_user_sgpr_private_segment_size 0
		.amdhsa_wavefront_size32 1
		.amdhsa_uses_dynamic_stack 0
		.amdhsa_enable_private_segment 0
		.amdhsa_system_sgpr_workgroup_id_x 1
		.amdhsa_system_sgpr_workgroup_id_y 0
		.amdhsa_system_sgpr_workgroup_id_z 0
		.amdhsa_system_sgpr_workgroup_info 0
		.amdhsa_system_vgpr_workitem_id 0
		.amdhsa_next_free_vgpr 1
		.amdhsa_next_free_sgpr 1
		.amdhsa_reserve_vcc 0
		.amdhsa_float_round_mode_32 0
		.amdhsa_float_round_mode_16_64 0
		.amdhsa_float_denorm_mode_32 3
		.amdhsa_float_denorm_mode_16_64 3
		.amdhsa_dx10_clamp 1
		.amdhsa_ieee_mode 1
		.amdhsa_fp16_overflow 0
		.amdhsa_workgroup_processor_mode 1
		.amdhsa_memory_ordered 1
		.amdhsa_forward_progress 0
		.amdhsa_shared_vgpr_count 0
		.amdhsa_exception_fp_ieee_invalid_op 0
		.amdhsa_exception_fp_denorm_src 0
		.amdhsa_exception_fp_ieee_div_zero 0
		.amdhsa_exception_fp_ieee_overflow 0
		.amdhsa_exception_fp_ieee_underflow 0
		.amdhsa_exception_fp_ieee_inexact 0
		.amdhsa_exception_int_div_zero 0
	.end_amdhsa_kernel
	.section	.text._ZN9rocsparse29copy_farray_mix_safe_kernel_tI21rocsparse_complex_numIdEhvE3runILj1024EEEvmPS2_PKhPh,"axG",@progbits,_ZN9rocsparse29copy_farray_mix_safe_kernel_tI21rocsparse_complex_numIdEhvE3runILj1024EEEvmPS2_PKhPh,comdat
.Lfunc_end99:
	.size	_ZN9rocsparse29copy_farray_mix_safe_kernel_tI21rocsparse_complex_numIdEhvE3runILj1024EEEvmPS2_PKhPh, .Lfunc_end99-_ZN9rocsparse29copy_farray_mix_safe_kernel_tI21rocsparse_complex_numIdEhvE3runILj1024EEEvmPS2_PKhPh
                                        ; -- End function
	.section	.AMDGPU.csdata,"",@progbits
; Kernel info:
; codeLenInByte = 4
; NumSgprs: 0
; NumVgprs: 0
; ScratchSize: 0
; MemoryBound: 0
; FloatMode: 240
; IeeeMode: 1
; LDSByteSize: 0 bytes/workgroup (compile time only)
; SGPRBlocks: 0
; VGPRBlocks: 0
; NumSGPRsForWavesPerEU: 1
; NumVGPRsForWavesPerEU: 1
; Occupancy: 16
; WaveLimiterHint : 0
; COMPUTE_PGM_RSRC2:SCRATCH_EN: 0
; COMPUTE_PGM_RSRC2:USER_SGPR: 15
; COMPUTE_PGM_RSRC2:TRAP_HANDLER: 0
; COMPUTE_PGM_RSRC2:TGID_X_EN: 1
; COMPUTE_PGM_RSRC2:TGID_Y_EN: 0
; COMPUTE_PGM_RSRC2:TGID_Z_EN: 0
; COMPUTE_PGM_RSRC2:TIDIG_COMP_CNT: 0
	.section	.text._ZN9rocsparse29copy_farray_mix_safe_kernel_tI21rocsparse_complex_numIdEivE3runILj1024EEEvmPS2_PKiPi,"axG",@progbits,_ZN9rocsparse29copy_farray_mix_safe_kernel_tI21rocsparse_complex_numIdEivE3runILj1024EEEvmPS2_PKiPi,comdat
	.protected	_ZN9rocsparse29copy_farray_mix_safe_kernel_tI21rocsparse_complex_numIdEivE3runILj1024EEEvmPS2_PKiPi ; -- Begin function _ZN9rocsparse29copy_farray_mix_safe_kernel_tI21rocsparse_complex_numIdEivE3runILj1024EEEvmPS2_PKiPi
	.globl	_ZN9rocsparse29copy_farray_mix_safe_kernel_tI21rocsparse_complex_numIdEivE3runILj1024EEEvmPS2_PKiPi
	.p2align	8
	.type	_ZN9rocsparse29copy_farray_mix_safe_kernel_tI21rocsparse_complex_numIdEivE3runILj1024EEEvmPS2_PKiPi,@function
_ZN9rocsparse29copy_farray_mix_safe_kernel_tI21rocsparse_complex_numIdEivE3runILj1024EEEvmPS2_PKiPi: ; @_ZN9rocsparse29copy_farray_mix_safe_kernel_tI21rocsparse_complex_numIdEivE3runILj1024EEEvmPS2_PKiPi
; %bb.0:
	s_endpgm
	.section	.rodata,"a",@progbits
	.p2align	6, 0x0
	.amdhsa_kernel _ZN9rocsparse29copy_farray_mix_safe_kernel_tI21rocsparse_complex_numIdEivE3runILj1024EEEvmPS2_PKiPi
		.amdhsa_group_segment_fixed_size 0
		.amdhsa_private_segment_fixed_size 0
		.amdhsa_kernarg_size 32
		.amdhsa_user_sgpr_count 15
		.amdhsa_user_sgpr_dispatch_ptr 0
		.amdhsa_user_sgpr_queue_ptr 0
		.amdhsa_user_sgpr_kernarg_segment_ptr 1
		.amdhsa_user_sgpr_dispatch_id 0
		.amdhsa_user_sgpr_private_segment_size 0
		.amdhsa_wavefront_size32 1
		.amdhsa_uses_dynamic_stack 0
		.amdhsa_enable_private_segment 0
		.amdhsa_system_sgpr_workgroup_id_x 1
		.amdhsa_system_sgpr_workgroup_id_y 0
		.amdhsa_system_sgpr_workgroup_id_z 0
		.amdhsa_system_sgpr_workgroup_info 0
		.amdhsa_system_vgpr_workitem_id 0
		.amdhsa_next_free_vgpr 1
		.amdhsa_next_free_sgpr 1
		.amdhsa_reserve_vcc 0
		.amdhsa_float_round_mode_32 0
		.amdhsa_float_round_mode_16_64 0
		.amdhsa_float_denorm_mode_32 3
		.amdhsa_float_denorm_mode_16_64 3
		.amdhsa_dx10_clamp 1
		.amdhsa_ieee_mode 1
		.amdhsa_fp16_overflow 0
		.amdhsa_workgroup_processor_mode 1
		.amdhsa_memory_ordered 1
		.amdhsa_forward_progress 0
		.amdhsa_shared_vgpr_count 0
		.amdhsa_exception_fp_ieee_invalid_op 0
		.amdhsa_exception_fp_denorm_src 0
		.amdhsa_exception_fp_ieee_div_zero 0
		.amdhsa_exception_fp_ieee_overflow 0
		.amdhsa_exception_fp_ieee_underflow 0
		.amdhsa_exception_fp_ieee_inexact 0
		.amdhsa_exception_int_div_zero 0
	.end_amdhsa_kernel
	.section	.text._ZN9rocsparse29copy_farray_mix_safe_kernel_tI21rocsparse_complex_numIdEivE3runILj1024EEEvmPS2_PKiPi,"axG",@progbits,_ZN9rocsparse29copy_farray_mix_safe_kernel_tI21rocsparse_complex_numIdEivE3runILj1024EEEvmPS2_PKiPi,comdat
.Lfunc_end100:
	.size	_ZN9rocsparse29copy_farray_mix_safe_kernel_tI21rocsparse_complex_numIdEivE3runILj1024EEEvmPS2_PKiPi, .Lfunc_end100-_ZN9rocsparse29copy_farray_mix_safe_kernel_tI21rocsparse_complex_numIdEivE3runILj1024EEEvmPS2_PKiPi
                                        ; -- End function
	.section	.AMDGPU.csdata,"",@progbits
; Kernel info:
; codeLenInByte = 4
; NumSgprs: 0
; NumVgprs: 0
; ScratchSize: 0
; MemoryBound: 0
; FloatMode: 240
; IeeeMode: 1
; LDSByteSize: 0 bytes/workgroup (compile time only)
; SGPRBlocks: 0
; VGPRBlocks: 0
; NumSGPRsForWavesPerEU: 1
; NumVGPRsForWavesPerEU: 1
; Occupancy: 16
; WaveLimiterHint : 0
; COMPUTE_PGM_RSRC2:SCRATCH_EN: 0
; COMPUTE_PGM_RSRC2:USER_SGPR: 15
; COMPUTE_PGM_RSRC2:TRAP_HANDLER: 0
; COMPUTE_PGM_RSRC2:TGID_X_EN: 1
; COMPUTE_PGM_RSRC2:TGID_Y_EN: 0
; COMPUTE_PGM_RSRC2:TGID_Z_EN: 0
; COMPUTE_PGM_RSRC2:TIDIG_COMP_CNT: 0
	.section	.text._ZN9rocsparse29copy_farray_mix_safe_kernel_tI21rocsparse_complex_numIdEjvE3runILj1024EEEvmPS2_PKjPj,"axG",@progbits,_ZN9rocsparse29copy_farray_mix_safe_kernel_tI21rocsparse_complex_numIdEjvE3runILj1024EEEvmPS2_PKjPj,comdat
	.protected	_ZN9rocsparse29copy_farray_mix_safe_kernel_tI21rocsparse_complex_numIdEjvE3runILj1024EEEvmPS2_PKjPj ; -- Begin function _ZN9rocsparse29copy_farray_mix_safe_kernel_tI21rocsparse_complex_numIdEjvE3runILj1024EEEvmPS2_PKjPj
	.globl	_ZN9rocsparse29copy_farray_mix_safe_kernel_tI21rocsparse_complex_numIdEjvE3runILj1024EEEvmPS2_PKjPj
	.p2align	8
	.type	_ZN9rocsparse29copy_farray_mix_safe_kernel_tI21rocsparse_complex_numIdEjvE3runILj1024EEEvmPS2_PKjPj,@function
_ZN9rocsparse29copy_farray_mix_safe_kernel_tI21rocsparse_complex_numIdEjvE3runILj1024EEEvmPS2_PKjPj: ; @_ZN9rocsparse29copy_farray_mix_safe_kernel_tI21rocsparse_complex_numIdEjvE3runILj1024EEEvmPS2_PKjPj
; %bb.0:
	s_endpgm
	.section	.rodata,"a",@progbits
	.p2align	6, 0x0
	.amdhsa_kernel _ZN9rocsparse29copy_farray_mix_safe_kernel_tI21rocsparse_complex_numIdEjvE3runILj1024EEEvmPS2_PKjPj
		.amdhsa_group_segment_fixed_size 0
		.amdhsa_private_segment_fixed_size 0
		.amdhsa_kernarg_size 32
		.amdhsa_user_sgpr_count 15
		.amdhsa_user_sgpr_dispatch_ptr 0
		.amdhsa_user_sgpr_queue_ptr 0
		.amdhsa_user_sgpr_kernarg_segment_ptr 1
		.amdhsa_user_sgpr_dispatch_id 0
		.amdhsa_user_sgpr_private_segment_size 0
		.amdhsa_wavefront_size32 1
		.amdhsa_uses_dynamic_stack 0
		.amdhsa_enable_private_segment 0
		.amdhsa_system_sgpr_workgroup_id_x 1
		.amdhsa_system_sgpr_workgroup_id_y 0
		.amdhsa_system_sgpr_workgroup_id_z 0
		.amdhsa_system_sgpr_workgroup_info 0
		.amdhsa_system_vgpr_workitem_id 0
		.amdhsa_next_free_vgpr 1
		.amdhsa_next_free_sgpr 1
		.amdhsa_reserve_vcc 0
		.amdhsa_float_round_mode_32 0
		.amdhsa_float_round_mode_16_64 0
		.amdhsa_float_denorm_mode_32 3
		.amdhsa_float_denorm_mode_16_64 3
		.amdhsa_dx10_clamp 1
		.amdhsa_ieee_mode 1
		.amdhsa_fp16_overflow 0
		.amdhsa_workgroup_processor_mode 1
		.amdhsa_memory_ordered 1
		.amdhsa_forward_progress 0
		.amdhsa_shared_vgpr_count 0
		.amdhsa_exception_fp_ieee_invalid_op 0
		.amdhsa_exception_fp_denorm_src 0
		.amdhsa_exception_fp_ieee_div_zero 0
		.amdhsa_exception_fp_ieee_overflow 0
		.amdhsa_exception_fp_ieee_underflow 0
		.amdhsa_exception_fp_ieee_inexact 0
		.amdhsa_exception_int_div_zero 0
	.end_amdhsa_kernel
	.section	.text._ZN9rocsparse29copy_farray_mix_safe_kernel_tI21rocsparse_complex_numIdEjvE3runILj1024EEEvmPS2_PKjPj,"axG",@progbits,_ZN9rocsparse29copy_farray_mix_safe_kernel_tI21rocsparse_complex_numIdEjvE3runILj1024EEEvmPS2_PKjPj,comdat
.Lfunc_end101:
	.size	_ZN9rocsparse29copy_farray_mix_safe_kernel_tI21rocsparse_complex_numIdEjvE3runILj1024EEEvmPS2_PKjPj, .Lfunc_end101-_ZN9rocsparse29copy_farray_mix_safe_kernel_tI21rocsparse_complex_numIdEjvE3runILj1024EEEvmPS2_PKjPj
                                        ; -- End function
	.section	.AMDGPU.csdata,"",@progbits
; Kernel info:
; codeLenInByte = 4
; NumSgprs: 0
; NumVgprs: 0
; ScratchSize: 0
; MemoryBound: 0
; FloatMode: 240
; IeeeMode: 1
; LDSByteSize: 0 bytes/workgroup (compile time only)
; SGPRBlocks: 0
; VGPRBlocks: 0
; NumSGPRsForWavesPerEU: 1
; NumVGPRsForWavesPerEU: 1
; Occupancy: 16
; WaveLimiterHint : 0
; COMPUTE_PGM_RSRC2:SCRATCH_EN: 0
; COMPUTE_PGM_RSRC2:USER_SGPR: 15
; COMPUTE_PGM_RSRC2:TRAP_HANDLER: 0
; COMPUTE_PGM_RSRC2:TGID_X_EN: 1
; COMPUTE_PGM_RSRC2:TGID_Y_EN: 0
; COMPUTE_PGM_RSRC2:TGID_Z_EN: 0
; COMPUTE_PGM_RSRC2:TIDIG_COMP_CNT: 0
	.section	.text._ZN9rocsparse29copy_farray_mix_safe_kernel_tI21rocsparse_complex_numIdEDF16_vE3runILj1024EEEvmPS2_PKDF16_PDF16_,"axG",@progbits,_ZN9rocsparse29copy_farray_mix_safe_kernel_tI21rocsparse_complex_numIdEDF16_vE3runILj1024EEEvmPS2_PKDF16_PDF16_,comdat
	.protected	_ZN9rocsparse29copy_farray_mix_safe_kernel_tI21rocsparse_complex_numIdEDF16_vE3runILj1024EEEvmPS2_PKDF16_PDF16_ ; -- Begin function _ZN9rocsparse29copy_farray_mix_safe_kernel_tI21rocsparse_complex_numIdEDF16_vE3runILj1024EEEvmPS2_PKDF16_PDF16_
	.globl	_ZN9rocsparse29copy_farray_mix_safe_kernel_tI21rocsparse_complex_numIdEDF16_vE3runILj1024EEEvmPS2_PKDF16_PDF16_
	.p2align	8
	.type	_ZN9rocsparse29copy_farray_mix_safe_kernel_tI21rocsparse_complex_numIdEDF16_vE3runILj1024EEEvmPS2_PKDF16_PDF16_,@function
_ZN9rocsparse29copy_farray_mix_safe_kernel_tI21rocsparse_complex_numIdEDF16_vE3runILj1024EEEvmPS2_PKDF16_PDF16_: ; @_ZN9rocsparse29copy_farray_mix_safe_kernel_tI21rocsparse_complex_numIdEDF16_vE3runILj1024EEEvmPS2_PKDF16_PDF16_
; %bb.0:
	s_endpgm
	.section	.rodata,"a",@progbits
	.p2align	6, 0x0
	.amdhsa_kernel _ZN9rocsparse29copy_farray_mix_safe_kernel_tI21rocsparse_complex_numIdEDF16_vE3runILj1024EEEvmPS2_PKDF16_PDF16_
		.amdhsa_group_segment_fixed_size 0
		.amdhsa_private_segment_fixed_size 0
		.amdhsa_kernarg_size 32
		.amdhsa_user_sgpr_count 15
		.amdhsa_user_sgpr_dispatch_ptr 0
		.amdhsa_user_sgpr_queue_ptr 0
		.amdhsa_user_sgpr_kernarg_segment_ptr 1
		.amdhsa_user_sgpr_dispatch_id 0
		.amdhsa_user_sgpr_private_segment_size 0
		.amdhsa_wavefront_size32 1
		.amdhsa_uses_dynamic_stack 0
		.amdhsa_enable_private_segment 0
		.amdhsa_system_sgpr_workgroup_id_x 1
		.amdhsa_system_sgpr_workgroup_id_y 0
		.amdhsa_system_sgpr_workgroup_id_z 0
		.amdhsa_system_sgpr_workgroup_info 0
		.amdhsa_system_vgpr_workitem_id 0
		.amdhsa_next_free_vgpr 1
		.amdhsa_next_free_sgpr 1
		.amdhsa_reserve_vcc 0
		.amdhsa_float_round_mode_32 0
		.amdhsa_float_round_mode_16_64 0
		.amdhsa_float_denorm_mode_32 3
		.amdhsa_float_denorm_mode_16_64 3
		.amdhsa_dx10_clamp 1
		.amdhsa_ieee_mode 1
		.amdhsa_fp16_overflow 0
		.amdhsa_workgroup_processor_mode 1
		.amdhsa_memory_ordered 1
		.amdhsa_forward_progress 0
		.amdhsa_shared_vgpr_count 0
		.amdhsa_exception_fp_ieee_invalid_op 0
		.amdhsa_exception_fp_denorm_src 0
		.amdhsa_exception_fp_ieee_div_zero 0
		.amdhsa_exception_fp_ieee_overflow 0
		.amdhsa_exception_fp_ieee_underflow 0
		.amdhsa_exception_fp_ieee_inexact 0
		.amdhsa_exception_int_div_zero 0
	.end_amdhsa_kernel
	.section	.text._ZN9rocsparse29copy_farray_mix_safe_kernel_tI21rocsparse_complex_numIdEDF16_vE3runILj1024EEEvmPS2_PKDF16_PDF16_,"axG",@progbits,_ZN9rocsparse29copy_farray_mix_safe_kernel_tI21rocsparse_complex_numIdEDF16_vE3runILj1024EEEvmPS2_PKDF16_PDF16_,comdat
.Lfunc_end102:
	.size	_ZN9rocsparse29copy_farray_mix_safe_kernel_tI21rocsparse_complex_numIdEDF16_vE3runILj1024EEEvmPS2_PKDF16_PDF16_, .Lfunc_end102-_ZN9rocsparse29copy_farray_mix_safe_kernel_tI21rocsparse_complex_numIdEDF16_vE3runILj1024EEEvmPS2_PKDF16_PDF16_
                                        ; -- End function
	.section	.AMDGPU.csdata,"",@progbits
; Kernel info:
; codeLenInByte = 4
; NumSgprs: 0
; NumVgprs: 0
; ScratchSize: 0
; MemoryBound: 0
; FloatMode: 240
; IeeeMode: 1
; LDSByteSize: 0 bytes/workgroup (compile time only)
; SGPRBlocks: 0
; VGPRBlocks: 0
; NumSGPRsForWavesPerEU: 1
; NumVGPRsForWavesPerEU: 1
; Occupancy: 16
; WaveLimiterHint : 0
; COMPUTE_PGM_RSRC2:SCRATCH_EN: 0
; COMPUTE_PGM_RSRC2:USER_SGPR: 15
; COMPUTE_PGM_RSRC2:TRAP_HANDLER: 0
; COMPUTE_PGM_RSRC2:TGID_X_EN: 1
; COMPUTE_PGM_RSRC2:TGID_Y_EN: 0
; COMPUTE_PGM_RSRC2:TGID_Z_EN: 0
; COMPUTE_PGM_RSRC2:TIDIG_COMP_CNT: 0
	.section	.text._ZN9rocsparse29copy_farray_mix_safe_kernel_tI21rocsparse_complex_numIdE18rocsparse_bfloat16vE3runILj1024EEEvmPS2_PKS3_PS3_,"axG",@progbits,_ZN9rocsparse29copy_farray_mix_safe_kernel_tI21rocsparse_complex_numIdE18rocsparse_bfloat16vE3runILj1024EEEvmPS2_PKS3_PS3_,comdat
	.protected	_ZN9rocsparse29copy_farray_mix_safe_kernel_tI21rocsparse_complex_numIdE18rocsparse_bfloat16vE3runILj1024EEEvmPS2_PKS3_PS3_ ; -- Begin function _ZN9rocsparse29copy_farray_mix_safe_kernel_tI21rocsparse_complex_numIdE18rocsparse_bfloat16vE3runILj1024EEEvmPS2_PKS3_PS3_
	.globl	_ZN9rocsparse29copy_farray_mix_safe_kernel_tI21rocsparse_complex_numIdE18rocsparse_bfloat16vE3runILj1024EEEvmPS2_PKS3_PS3_
	.p2align	8
	.type	_ZN9rocsparse29copy_farray_mix_safe_kernel_tI21rocsparse_complex_numIdE18rocsparse_bfloat16vE3runILj1024EEEvmPS2_PKS3_PS3_,@function
_ZN9rocsparse29copy_farray_mix_safe_kernel_tI21rocsparse_complex_numIdE18rocsparse_bfloat16vE3runILj1024EEEvmPS2_PKS3_PS3_: ; @_ZN9rocsparse29copy_farray_mix_safe_kernel_tI21rocsparse_complex_numIdE18rocsparse_bfloat16vE3runILj1024EEEvmPS2_PKS3_PS3_
; %bb.0:
	s_endpgm
	.section	.rodata,"a",@progbits
	.p2align	6, 0x0
	.amdhsa_kernel _ZN9rocsparse29copy_farray_mix_safe_kernel_tI21rocsparse_complex_numIdE18rocsparse_bfloat16vE3runILj1024EEEvmPS2_PKS3_PS3_
		.amdhsa_group_segment_fixed_size 0
		.amdhsa_private_segment_fixed_size 0
		.amdhsa_kernarg_size 32
		.amdhsa_user_sgpr_count 15
		.amdhsa_user_sgpr_dispatch_ptr 0
		.amdhsa_user_sgpr_queue_ptr 0
		.amdhsa_user_sgpr_kernarg_segment_ptr 1
		.amdhsa_user_sgpr_dispatch_id 0
		.amdhsa_user_sgpr_private_segment_size 0
		.amdhsa_wavefront_size32 1
		.amdhsa_uses_dynamic_stack 0
		.amdhsa_enable_private_segment 0
		.amdhsa_system_sgpr_workgroup_id_x 1
		.amdhsa_system_sgpr_workgroup_id_y 0
		.amdhsa_system_sgpr_workgroup_id_z 0
		.amdhsa_system_sgpr_workgroup_info 0
		.amdhsa_system_vgpr_workitem_id 0
		.amdhsa_next_free_vgpr 1
		.amdhsa_next_free_sgpr 1
		.amdhsa_reserve_vcc 0
		.amdhsa_float_round_mode_32 0
		.amdhsa_float_round_mode_16_64 0
		.amdhsa_float_denorm_mode_32 3
		.amdhsa_float_denorm_mode_16_64 3
		.amdhsa_dx10_clamp 1
		.amdhsa_ieee_mode 1
		.amdhsa_fp16_overflow 0
		.amdhsa_workgroup_processor_mode 1
		.amdhsa_memory_ordered 1
		.amdhsa_forward_progress 0
		.amdhsa_shared_vgpr_count 0
		.amdhsa_exception_fp_ieee_invalid_op 0
		.amdhsa_exception_fp_denorm_src 0
		.amdhsa_exception_fp_ieee_div_zero 0
		.amdhsa_exception_fp_ieee_overflow 0
		.amdhsa_exception_fp_ieee_underflow 0
		.amdhsa_exception_fp_ieee_inexact 0
		.amdhsa_exception_int_div_zero 0
	.end_amdhsa_kernel
	.section	.text._ZN9rocsparse29copy_farray_mix_safe_kernel_tI21rocsparse_complex_numIdE18rocsparse_bfloat16vE3runILj1024EEEvmPS2_PKS3_PS3_,"axG",@progbits,_ZN9rocsparse29copy_farray_mix_safe_kernel_tI21rocsparse_complex_numIdE18rocsparse_bfloat16vE3runILj1024EEEvmPS2_PKS3_PS3_,comdat
.Lfunc_end103:
	.size	_ZN9rocsparse29copy_farray_mix_safe_kernel_tI21rocsparse_complex_numIdE18rocsparse_bfloat16vE3runILj1024EEEvmPS2_PKS3_PS3_, .Lfunc_end103-_ZN9rocsparse29copy_farray_mix_safe_kernel_tI21rocsparse_complex_numIdE18rocsparse_bfloat16vE3runILj1024EEEvmPS2_PKS3_PS3_
                                        ; -- End function
	.section	.AMDGPU.csdata,"",@progbits
; Kernel info:
; codeLenInByte = 4
; NumSgprs: 0
; NumVgprs: 0
; ScratchSize: 0
; MemoryBound: 0
; FloatMode: 240
; IeeeMode: 1
; LDSByteSize: 0 bytes/workgroup (compile time only)
; SGPRBlocks: 0
; VGPRBlocks: 0
; NumSGPRsForWavesPerEU: 1
; NumVGPRsForWavesPerEU: 1
; Occupancy: 16
; WaveLimiterHint : 0
; COMPUTE_PGM_RSRC2:SCRATCH_EN: 0
; COMPUTE_PGM_RSRC2:USER_SGPR: 15
; COMPUTE_PGM_RSRC2:TRAP_HANDLER: 0
; COMPUTE_PGM_RSRC2:TGID_X_EN: 1
; COMPUTE_PGM_RSRC2:TGID_Y_EN: 0
; COMPUTE_PGM_RSRC2:TGID_Z_EN: 0
; COMPUTE_PGM_RSRC2:TIDIG_COMP_CNT: 0
	.section	.text._ZN9rocsparse29copy_farray_mix_safe_kernel_tI21rocsparse_complex_numIdEfvE3runILj1024EEEvmPS2_PKfPf,"axG",@progbits,_ZN9rocsparse29copy_farray_mix_safe_kernel_tI21rocsparse_complex_numIdEfvE3runILj1024EEEvmPS2_PKfPf,comdat
	.protected	_ZN9rocsparse29copy_farray_mix_safe_kernel_tI21rocsparse_complex_numIdEfvE3runILj1024EEEvmPS2_PKfPf ; -- Begin function _ZN9rocsparse29copy_farray_mix_safe_kernel_tI21rocsparse_complex_numIdEfvE3runILj1024EEEvmPS2_PKfPf
	.globl	_ZN9rocsparse29copy_farray_mix_safe_kernel_tI21rocsparse_complex_numIdEfvE3runILj1024EEEvmPS2_PKfPf
	.p2align	8
	.type	_ZN9rocsparse29copy_farray_mix_safe_kernel_tI21rocsparse_complex_numIdEfvE3runILj1024EEEvmPS2_PKfPf,@function
_ZN9rocsparse29copy_farray_mix_safe_kernel_tI21rocsparse_complex_numIdEfvE3runILj1024EEEvmPS2_PKfPf: ; @_ZN9rocsparse29copy_farray_mix_safe_kernel_tI21rocsparse_complex_numIdEfvE3runILj1024EEEvmPS2_PKfPf
; %bb.0:
	s_endpgm
	.section	.rodata,"a",@progbits
	.p2align	6, 0x0
	.amdhsa_kernel _ZN9rocsparse29copy_farray_mix_safe_kernel_tI21rocsparse_complex_numIdEfvE3runILj1024EEEvmPS2_PKfPf
		.amdhsa_group_segment_fixed_size 0
		.amdhsa_private_segment_fixed_size 0
		.amdhsa_kernarg_size 32
		.amdhsa_user_sgpr_count 15
		.amdhsa_user_sgpr_dispatch_ptr 0
		.amdhsa_user_sgpr_queue_ptr 0
		.amdhsa_user_sgpr_kernarg_segment_ptr 1
		.amdhsa_user_sgpr_dispatch_id 0
		.amdhsa_user_sgpr_private_segment_size 0
		.amdhsa_wavefront_size32 1
		.amdhsa_uses_dynamic_stack 0
		.amdhsa_enable_private_segment 0
		.amdhsa_system_sgpr_workgroup_id_x 1
		.amdhsa_system_sgpr_workgroup_id_y 0
		.amdhsa_system_sgpr_workgroup_id_z 0
		.amdhsa_system_sgpr_workgroup_info 0
		.amdhsa_system_vgpr_workitem_id 0
		.amdhsa_next_free_vgpr 1
		.amdhsa_next_free_sgpr 1
		.amdhsa_reserve_vcc 0
		.amdhsa_float_round_mode_32 0
		.amdhsa_float_round_mode_16_64 0
		.amdhsa_float_denorm_mode_32 3
		.amdhsa_float_denorm_mode_16_64 3
		.amdhsa_dx10_clamp 1
		.amdhsa_ieee_mode 1
		.amdhsa_fp16_overflow 0
		.amdhsa_workgroup_processor_mode 1
		.amdhsa_memory_ordered 1
		.amdhsa_forward_progress 0
		.amdhsa_shared_vgpr_count 0
		.amdhsa_exception_fp_ieee_invalid_op 0
		.amdhsa_exception_fp_denorm_src 0
		.amdhsa_exception_fp_ieee_div_zero 0
		.amdhsa_exception_fp_ieee_overflow 0
		.amdhsa_exception_fp_ieee_underflow 0
		.amdhsa_exception_fp_ieee_inexact 0
		.amdhsa_exception_int_div_zero 0
	.end_amdhsa_kernel
	.section	.text._ZN9rocsparse29copy_farray_mix_safe_kernel_tI21rocsparse_complex_numIdEfvE3runILj1024EEEvmPS2_PKfPf,"axG",@progbits,_ZN9rocsparse29copy_farray_mix_safe_kernel_tI21rocsparse_complex_numIdEfvE3runILj1024EEEvmPS2_PKfPf,comdat
.Lfunc_end104:
	.size	_ZN9rocsparse29copy_farray_mix_safe_kernel_tI21rocsparse_complex_numIdEfvE3runILj1024EEEvmPS2_PKfPf, .Lfunc_end104-_ZN9rocsparse29copy_farray_mix_safe_kernel_tI21rocsparse_complex_numIdEfvE3runILj1024EEEvmPS2_PKfPf
                                        ; -- End function
	.section	.AMDGPU.csdata,"",@progbits
; Kernel info:
; codeLenInByte = 4
; NumSgprs: 0
; NumVgprs: 0
; ScratchSize: 0
; MemoryBound: 0
; FloatMode: 240
; IeeeMode: 1
; LDSByteSize: 0 bytes/workgroup (compile time only)
; SGPRBlocks: 0
; VGPRBlocks: 0
; NumSGPRsForWavesPerEU: 1
; NumVGPRsForWavesPerEU: 1
; Occupancy: 16
; WaveLimiterHint : 0
; COMPUTE_PGM_RSRC2:SCRATCH_EN: 0
; COMPUTE_PGM_RSRC2:USER_SGPR: 15
; COMPUTE_PGM_RSRC2:TRAP_HANDLER: 0
; COMPUTE_PGM_RSRC2:TGID_X_EN: 1
; COMPUTE_PGM_RSRC2:TGID_Y_EN: 0
; COMPUTE_PGM_RSRC2:TGID_Z_EN: 0
; COMPUTE_PGM_RSRC2:TIDIG_COMP_CNT: 0
	.section	.text._ZN9rocsparse29copy_farray_mix_safe_kernel_tI21rocsparse_complex_numIdEdvE3runILj1024EEEvmPS2_PKdPd,"axG",@progbits,_ZN9rocsparse29copy_farray_mix_safe_kernel_tI21rocsparse_complex_numIdEdvE3runILj1024EEEvmPS2_PKdPd,comdat
	.protected	_ZN9rocsparse29copy_farray_mix_safe_kernel_tI21rocsparse_complex_numIdEdvE3runILj1024EEEvmPS2_PKdPd ; -- Begin function _ZN9rocsparse29copy_farray_mix_safe_kernel_tI21rocsparse_complex_numIdEdvE3runILj1024EEEvmPS2_PKdPd
	.globl	_ZN9rocsparse29copy_farray_mix_safe_kernel_tI21rocsparse_complex_numIdEdvE3runILj1024EEEvmPS2_PKdPd
	.p2align	8
	.type	_ZN9rocsparse29copy_farray_mix_safe_kernel_tI21rocsparse_complex_numIdEdvE3runILj1024EEEvmPS2_PKdPd,@function
_ZN9rocsparse29copy_farray_mix_safe_kernel_tI21rocsparse_complex_numIdEdvE3runILj1024EEEvmPS2_PKdPd: ; @_ZN9rocsparse29copy_farray_mix_safe_kernel_tI21rocsparse_complex_numIdEdvE3runILj1024EEEvmPS2_PKdPd
; %bb.0:
	s_endpgm
	.section	.rodata,"a",@progbits
	.p2align	6, 0x0
	.amdhsa_kernel _ZN9rocsparse29copy_farray_mix_safe_kernel_tI21rocsparse_complex_numIdEdvE3runILj1024EEEvmPS2_PKdPd
		.amdhsa_group_segment_fixed_size 0
		.amdhsa_private_segment_fixed_size 0
		.amdhsa_kernarg_size 32
		.amdhsa_user_sgpr_count 15
		.amdhsa_user_sgpr_dispatch_ptr 0
		.amdhsa_user_sgpr_queue_ptr 0
		.amdhsa_user_sgpr_kernarg_segment_ptr 1
		.amdhsa_user_sgpr_dispatch_id 0
		.amdhsa_user_sgpr_private_segment_size 0
		.amdhsa_wavefront_size32 1
		.amdhsa_uses_dynamic_stack 0
		.amdhsa_enable_private_segment 0
		.amdhsa_system_sgpr_workgroup_id_x 1
		.amdhsa_system_sgpr_workgroup_id_y 0
		.amdhsa_system_sgpr_workgroup_id_z 0
		.amdhsa_system_sgpr_workgroup_info 0
		.amdhsa_system_vgpr_workitem_id 0
		.amdhsa_next_free_vgpr 1
		.amdhsa_next_free_sgpr 1
		.amdhsa_reserve_vcc 0
		.amdhsa_float_round_mode_32 0
		.amdhsa_float_round_mode_16_64 0
		.amdhsa_float_denorm_mode_32 3
		.amdhsa_float_denorm_mode_16_64 3
		.amdhsa_dx10_clamp 1
		.amdhsa_ieee_mode 1
		.amdhsa_fp16_overflow 0
		.amdhsa_workgroup_processor_mode 1
		.amdhsa_memory_ordered 1
		.amdhsa_forward_progress 0
		.amdhsa_shared_vgpr_count 0
		.amdhsa_exception_fp_ieee_invalid_op 0
		.amdhsa_exception_fp_denorm_src 0
		.amdhsa_exception_fp_ieee_div_zero 0
		.amdhsa_exception_fp_ieee_overflow 0
		.amdhsa_exception_fp_ieee_underflow 0
		.amdhsa_exception_fp_ieee_inexact 0
		.amdhsa_exception_int_div_zero 0
	.end_amdhsa_kernel
	.section	.text._ZN9rocsparse29copy_farray_mix_safe_kernel_tI21rocsparse_complex_numIdEdvE3runILj1024EEEvmPS2_PKdPd,"axG",@progbits,_ZN9rocsparse29copy_farray_mix_safe_kernel_tI21rocsparse_complex_numIdEdvE3runILj1024EEEvmPS2_PKdPd,comdat
.Lfunc_end105:
	.size	_ZN9rocsparse29copy_farray_mix_safe_kernel_tI21rocsparse_complex_numIdEdvE3runILj1024EEEvmPS2_PKdPd, .Lfunc_end105-_ZN9rocsparse29copy_farray_mix_safe_kernel_tI21rocsparse_complex_numIdEdvE3runILj1024EEEvmPS2_PKdPd
                                        ; -- End function
	.section	.AMDGPU.csdata,"",@progbits
; Kernel info:
; codeLenInByte = 4
; NumSgprs: 0
; NumVgprs: 0
; ScratchSize: 0
; MemoryBound: 0
; FloatMode: 240
; IeeeMode: 1
; LDSByteSize: 0 bytes/workgroup (compile time only)
; SGPRBlocks: 0
; VGPRBlocks: 0
; NumSGPRsForWavesPerEU: 1
; NumVGPRsForWavesPerEU: 1
; Occupancy: 16
; WaveLimiterHint : 0
; COMPUTE_PGM_RSRC2:SCRATCH_EN: 0
; COMPUTE_PGM_RSRC2:USER_SGPR: 15
; COMPUTE_PGM_RSRC2:TRAP_HANDLER: 0
; COMPUTE_PGM_RSRC2:TGID_X_EN: 1
; COMPUTE_PGM_RSRC2:TGID_Y_EN: 0
; COMPUTE_PGM_RSRC2:TGID_Z_EN: 0
; COMPUTE_PGM_RSRC2:TIDIG_COMP_CNT: 0
	.section	.text._ZN9rocsparse29copy_farray_mix_safe_kernel_tI21rocsparse_complex_numIdES1_IfEvE3runILj1024EEEvmPS2_PKS3_Pf,"axG",@progbits,_ZN9rocsparse29copy_farray_mix_safe_kernel_tI21rocsparse_complex_numIdES1_IfEvE3runILj1024EEEvmPS2_PKS3_Pf,comdat
	.protected	_ZN9rocsparse29copy_farray_mix_safe_kernel_tI21rocsparse_complex_numIdES1_IfEvE3runILj1024EEEvmPS2_PKS3_Pf ; -- Begin function _ZN9rocsparse29copy_farray_mix_safe_kernel_tI21rocsparse_complex_numIdES1_IfEvE3runILj1024EEEvmPS2_PKS3_Pf
	.globl	_ZN9rocsparse29copy_farray_mix_safe_kernel_tI21rocsparse_complex_numIdES1_IfEvE3runILj1024EEEvmPS2_PKS3_Pf
	.p2align	8
	.type	_ZN9rocsparse29copy_farray_mix_safe_kernel_tI21rocsparse_complex_numIdES1_IfEvE3runILj1024EEEvmPS2_PKS3_Pf,@function
_ZN9rocsparse29copy_farray_mix_safe_kernel_tI21rocsparse_complex_numIdES1_IfEvE3runILj1024EEEvmPS2_PKS3_Pf: ; @_ZN9rocsparse29copy_farray_mix_safe_kernel_tI21rocsparse_complex_numIdES1_IfEvE3runILj1024EEEvmPS2_PKS3_Pf
; %bb.0:
	s_load_b128 s[4:7], s[0:1], 0x0
	v_lshl_or_b32 v0, s15, 10, v0
	v_mov_b32_e32 v1, 0
	s_mov_b32 s2, exec_lo
	s_waitcnt lgkmcnt(0)
	s_delay_alu instid0(VALU_DEP_1)
	v_cmpx_gt_u64_e64 s[4:5], v[0:1]
	s_cbranch_execz .LBB106_2
; %bb.1:
	s_load_b64 s[0:1], s[0:1], 0x10
	v_lshlrev_b64 v[2:3], 3, v[0:1]
	v_lshlrev_b64 v[0:1], 4, v[0:1]
	s_waitcnt lgkmcnt(0)
	s_delay_alu instid0(VALU_DEP_2) | instskip(NEXT) | instid1(VALU_DEP_3)
	v_add_co_u32 v2, vcc_lo, s0, v2
	v_add_co_ci_u32_e32 v3, vcc_lo, s1, v3, vcc_lo
	s_delay_alu instid0(VALU_DEP_3) | instskip(NEXT) | instid1(VALU_DEP_4)
	v_add_co_u32 v0, vcc_lo, s6, v0
	v_add_co_ci_u32_e32 v1, vcc_lo, s7, v1, vcc_lo
	global_load_b64 v[3:4], v[2:3], off
	s_waitcnt vmcnt(0)
	v_cvt_f64_f32_e32 v[2:3], v3
	v_cvt_f64_f32_e32 v[4:5], v4
	global_store_b128 v[0:1], v[2:5], off
.LBB106_2:
	s_nop 0
	s_sendmsg sendmsg(MSG_DEALLOC_VGPRS)
	s_endpgm
	.section	.rodata,"a",@progbits
	.p2align	6, 0x0
	.amdhsa_kernel _ZN9rocsparse29copy_farray_mix_safe_kernel_tI21rocsparse_complex_numIdES1_IfEvE3runILj1024EEEvmPS2_PKS3_Pf
		.amdhsa_group_segment_fixed_size 0
		.amdhsa_private_segment_fixed_size 0
		.amdhsa_kernarg_size 32
		.amdhsa_user_sgpr_count 15
		.amdhsa_user_sgpr_dispatch_ptr 0
		.amdhsa_user_sgpr_queue_ptr 0
		.amdhsa_user_sgpr_kernarg_segment_ptr 1
		.amdhsa_user_sgpr_dispatch_id 0
		.amdhsa_user_sgpr_private_segment_size 0
		.amdhsa_wavefront_size32 1
		.amdhsa_uses_dynamic_stack 0
		.amdhsa_enable_private_segment 0
		.amdhsa_system_sgpr_workgroup_id_x 1
		.amdhsa_system_sgpr_workgroup_id_y 0
		.amdhsa_system_sgpr_workgroup_id_z 0
		.amdhsa_system_sgpr_workgroup_info 0
		.amdhsa_system_vgpr_workitem_id 0
		.amdhsa_next_free_vgpr 6
		.amdhsa_next_free_sgpr 16
		.amdhsa_reserve_vcc 1
		.amdhsa_float_round_mode_32 0
		.amdhsa_float_round_mode_16_64 0
		.amdhsa_float_denorm_mode_32 3
		.amdhsa_float_denorm_mode_16_64 3
		.amdhsa_dx10_clamp 1
		.amdhsa_ieee_mode 1
		.amdhsa_fp16_overflow 0
		.amdhsa_workgroup_processor_mode 1
		.amdhsa_memory_ordered 1
		.amdhsa_forward_progress 0
		.amdhsa_shared_vgpr_count 0
		.amdhsa_exception_fp_ieee_invalid_op 0
		.amdhsa_exception_fp_denorm_src 0
		.amdhsa_exception_fp_ieee_div_zero 0
		.amdhsa_exception_fp_ieee_overflow 0
		.amdhsa_exception_fp_ieee_underflow 0
		.amdhsa_exception_fp_ieee_inexact 0
		.amdhsa_exception_int_div_zero 0
	.end_amdhsa_kernel
	.section	.text._ZN9rocsparse29copy_farray_mix_safe_kernel_tI21rocsparse_complex_numIdES1_IfEvE3runILj1024EEEvmPS2_PKS3_Pf,"axG",@progbits,_ZN9rocsparse29copy_farray_mix_safe_kernel_tI21rocsparse_complex_numIdES1_IfEvE3runILj1024EEEvmPS2_PKS3_Pf,comdat
.Lfunc_end106:
	.size	_ZN9rocsparse29copy_farray_mix_safe_kernel_tI21rocsparse_complex_numIdES1_IfEvE3runILj1024EEEvmPS2_PKS3_Pf, .Lfunc_end106-_ZN9rocsparse29copy_farray_mix_safe_kernel_tI21rocsparse_complex_numIdES1_IfEvE3runILj1024EEEvmPS2_PKS3_Pf
                                        ; -- End function
	.section	.AMDGPU.csdata,"",@progbits
; Kernel info:
; codeLenInByte = 144
; NumSgprs: 18
; NumVgprs: 6
; ScratchSize: 0
; MemoryBound: 0
; FloatMode: 240
; IeeeMode: 1
; LDSByteSize: 0 bytes/workgroup (compile time only)
; SGPRBlocks: 2
; VGPRBlocks: 0
; NumSGPRsForWavesPerEU: 18
; NumVGPRsForWavesPerEU: 6
; Occupancy: 16
; WaveLimiterHint : 0
; COMPUTE_PGM_RSRC2:SCRATCH_EN: 0
; COMPUTE_PGM_RSRC2:USER_SGPR: 15
; COMPUTE_PGM_RSRC2:TRAP_HANDLER: 0
; COMPUTE_PGM_RSRC2:TGID_X_EN: 1
; COMPUTE_PGM_RSRC2:TGID_Y_EN: 0
; COMPUTE_PGM_RSRC2:TGID_Z_EN: 0
; COMPUTE_PGM_RSRC2:TIDIG_COMP_CNT: 0
	.section	.text._ZN9rocsparse29copy_farray_mix_safe_kernel_tI21rocsparse_complex_numIdES2_vE3runILj1024EEEvmPS2_PKS2_Pd,"axG",@progbits,_ZN9rocsparse29copy_farray_mix_safe_kernel_tI21rocsparse_complex_numIdES2_vE3runILj1024EEEvmPS2_PKS2_Pd,comdat
	.protected	_ZN9rocsparse29copy_farray_mix_safe_kernel_tI21rocsparse_complex_numIdES2_vE3runILj1024EEEvmPS2_PKS2_Pd ; -- Begin function _ZN9rocsparse29copy_farray_mix_safe_kernel_tI21rocsparse_complex_numIdES2_vE3runILj1024EEEvmPS2_PKS2_Pd
	.globl	_ZN9rocsparse29copy_farray_mix_safe_kernel_tI21rocsparse_complex_numIdES2_vE3runILj1024EEEvmPS2_PKS2_Pd
	.p2align	8
	.type	_ZN9rocsparse29copy_farray_mix_safe_kernel_tI21rocsparse_complex_numIdES2_vE3runILj1024EEEvmPS2_PKS2_Pd,@function
_ZN9rocsparse29copy_farray_mix_safe_kernel_tI21rocsparse_complex_numIdES2_vE3runILj1024EEEvmPS2_PKS2_Pd: ; @_ZN9rocsparse29copy_farray_mix_safe_kernel_tI21rocsparse_complex_numIdES2_vE3runILj1024EEEvmPS2_PKS2_Pd
; %bb.0:
	s_load_b128 s[4:7], s[0:1], 0x0
	v_lshl_or_b32 v0, s15, 10, v0
	v_mov_b32_e32 v1, 0
	s_mov_b32 s2, exec_lo
	s_waitcnt lgkmcnt(0)
	s_delay_alu instid0(VALU_DEP_1)
	v_cmpx_gt_u64_e64 s[4:5], v[0:1]
	s_cbranch_execz .LBB107_2
; %bb.1:
	s_load_b64 s[0:1], s[0:1], 0x10
	v_lshlrev_b64 v[4:5], 4, v[0:1]
	s_waitcnt lgkmcnt(0)
	s_delay_alu instid0(VALU_DEP_1) | instskip(NEXT) | instid1(VALU_DEP_2)
	v_add_co_u32 v0, vcc_lo, s0, v4
	v_add_co_ci_u32_e32 v1, vcc_lo, s1, v5, vcc_lo
	v_add_co_u32 v4, vcc_lo, s6, v4
	v_add_co_ci_u32_e32 v5, vcc_lo, s7, v5, vcc_lo
	global_load_b128 v[0:3], v[0:1], off
	s_waitcnt vmcnt(0)
	global_store_b128 v[4:5], v[0:3], off
.LBB107_2:
	s_nop 0
	s_sendmsg sendmsg(MSG_DEALLOC_VGPRS)
	s_endpgm
	.section	.rodata,"a",@progbits
	.p2align	6, 0x0
	.amdhsa_kernel _ZN9rocsparse29copy_farray_mix_safe_kernel_tI21rocsparse_complex_numIdES2_vE3runILj1024EEEvmPS2_PKS2_Pd
		.amdhsa_group_segment_fixed_size 0
		.amdhsa_private_segment_fixed_size 0
		.amdhsa_kernarg_size 32
		.amdhsa_user_sgpr_count 15
		.amdhsa_user_sgpr_dispatch_ptr 0
		.amdhsa_user_sgpr_queue_ptr 0
		.amdhsa_user_sgpr_kernarg_segment_ptr 1
		.amdhsa_user_sgpr_dispatch_id 0
		.amdhsa_user_sgpr_private_segment_size 0
		.amdhsa_wavefront_size32 1
		.amdhsa_uses_dynamic_stack 0
		.amdhsa_enable_private_segment 0
		.amdhsa_system_sgpr_workgroup_id_x 1
		.amdhsa_system_sgpr_workgroup_id_y 0
		.amdhsa_system_sgpr_workgroup_id_z 0
		.amdhsa_system_sgpr_workgroup_info 0
		.amdhsa_system_vgpr_workitem_id 0
		.amdhsa_next_free_vgpr 6
		.amdhsa_next_free_sgpr 16
		.amdhsa_reserve_vcc 1
		.amdhsa_float_round_mode_32 0
		.amdhsa_float_round_mode_16_64 0
		.amdhsa_float_denorm_mode_32 3
		.amdhsa_float_denorm_mode_16_64 3
		.amdhsa_dx10_clamp 1
		.amdhsa_ieee_mode 1
		.amdhsa_fp16_overflow 0
		.amdhsa_workgroup_processor_mode 1
		.amdhsa_memory_ordered 1
		.amdhsa_forward_progress 0
		.amdhsa_shared_vgpr_count 0
		.amdhsa_exception_fp_ieee_invalid_op 0
		.amdhsa_exception_fp_denorm_src 0
		.amdhsa_exception_fp_ieee_div_zero 0
		.amdhsa_exception_fp_ieee_overflow 0
		.amdhsa_exception_fp_ieee_underflow 0
		.amdhsa_exception_fp_ieee_inexact 0
		.amdhsa_exception_int_div_zero 0
	.end_amdhsa_kernel
	.section	.text._ZN9rocsparse29copy_farray_mix_safe_kernel_tI21rocsparse_complex_numIdES2_vE3runILj1024EEEvmPS2_PKS2_Pd,"axG",@progbits,_ZN9rocsparse29copy_farray_mix_safe_kernel_tI21rocsparse_complex_numIdES2_vE3runILj1024EEEvmPS2_PKS2_Pd,comdat
.Lfunc_end107:
	.size	_ZN9rocsparse29copy_farray_mix_safe_kernel_tI21rocsparse_complex_numIdES2_vE3runILj1024EEEvmPS2_PKS2_Pd, .Lfunc_end107-_ZN9rocsparse29copy_farray_mix_safe_kernel_tI21rocsparse_complex_numIdES2_vE3runILj1024EEEvmPS2_PKS2_Pd
                                        ; -- End function
	.section	.AMDGPU.csdata,"",@progbits
; Kernel info:
; codeLenInByte = 124
; NumSgprs: 18
; NumVgprs: 6
; ScratchSize: 0
; MemoryBound: 0
; FloatMode: 240
; IeeeMode: 1
; LDSByteSize: 0 bytes/workgroup (compile time only)
; SGPRBlocks: 2
; VGPRBlocks: 0
; NumSGPRsForWavesPerEU: 18
; NumVGPRsForWavesPerEU: 6
; Occupancy: 16
; WaveLimiterHint : 0
; COMPUTE_PGM_RSRC2:SCRATCH_EN: 0
; COMPUTE_PGM_RSRC2:USER_SGPR: 15
; COMPUTE_PGM_RSRC2:TRAP_HANDLER: 0
; COMPUTE_PGM_RSRC2:TGID_X_EN: 1
; COMPUTE_PGM_RSRC2:TGID_Y_EN: 0
; COMPUTE_PGM_RSRC2:TGID_Z_EN: 0
; COMPUTE_PGM_RSRC2:TIDIG_COMP_CNT: 0
	.text
	.p2alignl 7, 3214868480
	.fill 96, 4, 3214868480
	.type	__hip_cuid_d426852847a5548,@object ; @__hip_cuid_d426852847a5548
	.section	.bss,"aw",@nobits
	.globl	__hip_cuid_d426852847a5548
__hip_cuid_d426852847a5548:
	.byte	0                               ; 0x0
	.size	__hip_cuid_d426852847a5548, 1

	.ident	"AMD clang version 19.0.0git (https://github.com/RadeonOpenCompute/llvm-project roc-6.4.0 25133 c7fe45cf4b819c5991fe208aaa96edf142730f1d)"
	.section	".note.GNU-stack","",@progbits
	.addrsig
	.addrsig_sym __hip_cuid_d426852847a5548
	.amdgpu_metadata
---
amdhsa.kernels:
  - .args:
      - .offset:         0
        .size:           8
        .value_kind:     by_value
      - .address_space:  global
        .offset:         8
        .size:           8
        .value_kind:     global_buffer
      - .offset:         16
        .size:           4
        .value_kind:     by_value
      - .address_space:  global
        .offset:         24
        .size:           8
        .value_kind:     global_buffer
      - .offset:         32
        .size:           4
        .value_kind:     by_value
      - .address_space:  global
        .offset:         40
        .size:           8
        .value_kind:     global_buffer
    .group_segment_fixed_size: 8192
    .kernarg_segment_align: 8
    .kernarg_segment_size: 48
    .language:       OpenCL C
    .language_version:
      - 2
      - 0
    .max_flat_workgroup_size: 1024
    .name:           _ZN9rocsparseL30copy_indexbase_iarray_mix_safeILj1024EiiEEvmPT0_21rocsparse_index_base_PKT1_S3_Pm
    .private_segment_fixed_size: 0
    .sgpr_count:     18
    .sgpr_spill_count: 0
    .symbol:         _ZN9rocsparseL30copy_indexbase_iarray_mix_safeILj1024EiiEEvmPT0_21rocsparse_index_base_PKT1_S3_Pm.kd
    .uniform_work_group_size: 1
    .uses_dynamic_stack: false
    .vgpr_count:     8
    .vgpr_spill_count: 0
    .wavefront_size: 32
    .workgroup_processor_mode: 1
  - .args:
      - .offset:         0
        .size:           8
        .value_kind:     by_value
      - .address_space:  global
        .offset:         8
        .size:           8
        .value_kind:     global_buffer
      - .offset:         16
        .size:           4
        .value_kind:     by_value
      - .address_space:  global
        .offset:         24
        .size:           8
        .value_kind:     global_buffer
      - .offset:         32
        .size:           4
        .value_kind:     by_value
      - .address_space:  global
        .offset:         40
        .size:           8
        .value_kind:     global_buffer
    .group_segment_fixed_size: 8192
    .kernarg_segment_align: 8
    .kernarg_segment_size: 48
    .language:       OpenCL C
    .language_version:
      - 2
      - 0
    .max_flat_workgroup_size: 1024
    .name:           _ZN9rocsparseL30copy_indexbase_iarray_mix_safeILj1024EilEEvmPT0_21rocsparse_index_base_PKT1_S3_Pm
    .private_segment_fixed_size: 0
    .sgpr_count:     18
    .sgpr_spill_count: 0
    .symbol:         _ZN9rocsparseL30copy_indexbase_iarray_mix_safeILj1024EilEEvmPT0_21rocsparse_index_base_PKT1_S3_Pm.kd
    .uniform_work_group_size: 1
    .uses_dynamic_stack: false
    .vgpr_count:     8
    .vgpr_spill_count: 0
    .wavefront_size: 32
    .workgroup_processor_mode: 1
  - .args:
      - .offset:         0
        .size:           8
        .value_kind:     by_value
      - .address_space:  global
        .offset:         8
        .size:           8
        .value_kind:     global_buffer
      - .offset:         16
        .size:           4
        .value_kind:     by_value
      - .address_space:  global
        .offset:         24
        .size:           8
        .value_kind:     global_buffer
      - .offset:         32
        .size:           4
        .value_kind:     by_value
      - .address_space:  global
        .offset:         40
        .size:           8
        .value_kind:     global_buffer
    .group_segment_fixed_size: 8192
    .kernarg_segment_align: 8
    .kernarg_segment_size: 48
    .language:       OpenCL C
    .language_version:
      - 2
      - 0
    .max_flat_workgroup_size: 1024
    .name:           _ZN9rocsparseL30copy_indexbase_iarray_mix_safeILj1024EliEEvmPT0_21rocsparse_index_base_PKT1_S3_Pm
    .private_segment_fixed_size: 0
    .sgpr_count:     18
    .sgpr_spill_count: 0
    .symbol:         _ZN9rocsparseL30copy_indexbase_iarray_mix_safeILj1024EliEEvmPT0_21rocsparse_index_base_PKT1_S3_Pm.kd
    .uniform_work_group_size: 1
    .uses_dynamic_stack: false
    .vgpr_count:     8
    .vgpr_spill_count: 0
    .wavefront_size: 32
    .workgroup_processor_mode: 1
  - .args:
      - .offset:         0
        .size:           8
        .value_kind:     by_value
      - .address_space:  global
        .offset:         8
        .size:           8
        .value_kind:     global_buffer
      - .offset:         16
        .size:           4
        .value_kind:     by_value
      - .address_space:  global
        .offset:         24
        .size:           8
        .value_kind:     global_buffer
      - .offset:         32
        .size:           4
        .value_kind:     by_value
      - .address_space:  global
        .offset:         40
        .size:           8
        .value_kind:     global_buffer
    .group_segment_fixed_size: 8192
    .kernarg_segment_align: 8
    .kernarg_segment_size: 48
    .language:       OpenCL C
    .language_version:
      - 2
      - 0
    .max_flat_workgroup_size: 1024
    .name:           _ZN9rocsparseL30copy_indexbase_iarray_mix_safeILj1024EllEEvmPT0_21rocsparse_index_base_PKT1_S3_Pm
    .private_segment_fixed_size: 0
    .sgpr_count:     18
    .sgpr_spill_count: 0
    .symbol:         _ZN9rocsparseL30copy_indexbase_iarray_mix_safeILj1024EllEEvmPT0_21rocsparse_index_base_PKT1_S3_Pm.kd
    .uniform_work_group_size: 1
    .uses_dynamic_stack: false
    .vgpr_count:     8
    .vgpr_spill_count: 0
    .wavefront_size: 32
    .workgroup_processor_mode: 1
  - .args:
      - .offset:         0
        .size:           8
        .value_kind:     by_value
      - .address_space:  global
        .offset:         8
        .size:           8
        .value_kind:     global_buffer
      - .offset:         16
        .size:           8
        .value_kind:     by_value
      - .address_space:  global
        .offset:         24
        .size:           8
        .value_kind:     global_buffer
      - .offset:         32
        .size:           8
        .value_kind:     by_value
      - .address_space:  global
        .offset:         40
        .size:           8
        .value_kind:     global_buffer
    .group_segment_fixed_size: 8192
    .kernarg_segment_align: 8
    .kernarg_segment_size: 48
    .language:       OpenCL C
    .language_version:
      - 2
      - 0
    .max_flat_workgroup_size: 1024
    .name:           _ZN9rocsparseL20copy_iarray_mix_safeILj1024EiiEEvmPT0_mPKT1_mPm
    .private_segment_fixed_size: 0
    .sgpr_count:     18
    .sgpr_spill_count: 0
    .symbol:         _ZN9rocsparseL20copy_iarray_mix_safeILj1024EiiEEvmPT0_mPKT1_mPm.kd
    .uniform_work_group_size: 1
    .uses_dynamic_stack: false
    .vgpr_count:     8
    .vgpr_spill_count: 0
    .wavefront_size: 32
    .workgroup_processor_mode: 1
  - .args:
      - .offset:         0
        .size:           8
        .value_kind:     by_value
      - .address_space:  global
        .offset:         8
        .size:           8
        .value_kind:     global_buffer
      - .offset:         16
        .size:           8
        .value_kind:     by_value
      - .address_space:  global
        .offset:         24
        .size:           8
        .value_kind:     global_buffer
      - .offset:         32
        .size:           8
        .value_kind:     by_value
      - .address_space:  global
        .offset:         40
        .size:           8
        .value_kind:     global_buffer
    .group_segment_fixed_size: 8192
    .kernarg_segment_align: 8
    .kernarg_segment_size: 48
    .language:       OpenCL C
    .language_version:
      - 2
      - 0
    .max_flat_workgroup_size: 1024
    .name:           _ZN9rocsparseL20copy_iarray_mix_safeILj1024EilEEvmPT0_mPKT1_mPm
    .private_segment_fixed_size: 0
    .sgpr_count:     18
    .sgpr_spill_count: 0
    .symbol:         _ZN9rocsparseL20copy_iarray_mix_safeILj1024EilEEvmPT0_mPKT1_mPm.kd
    .uniform_work_group_size: 1
    .uses_dynamic_stack: false
    .vgpr_count:     8
    .vgpr_spill_count: 0
    .wavefront_size: 32
    .workgroup_processor_mode: 1
  - .args:
      - .offset:         0
        .size:           8
        .value_kind:     by_value
      - .address_space:  global
        .offset:         8
        .size:           8
        .value_kind:     global_buffer
      - .offset:         16
        .size:           8
        .value_kind:     by_value
      - .address_space:  global
        .offset:         24
        .size:           8
        .value_kind:     global_buffer
      - .offset:         32
        .size:           8
        .value_kind:     by_value
      - .address_space:  global
        .offset:         40
        .size:           8
        .value_kind:     global_buffer
    .group_segment_fixed_size: 8192
    .kernarg_segment_align: 8
    .kernarg_segment_size: 48
    .language:       OpenCL C
    .language_version:
      - 2
      - 0
    .max_flat_workgroup_size: 1024
    .name:           _ZN9rocsparseL20copy_iarray_mix_safeILj1024EliEEvmPT0_mPKT1_mPm
    .private_segment_fixed_size: 0
    .sgpr_count:     18
    .sgpr_spill_count: 0
    .symbol:         _ZN9rocsparseL20copy_iarray_mix_safeILj1024EliEEvmPT0_mPKT1_mPm.kd
    .uniform_work_group_size: 1
    .uses_dynamic_stack: false
    .vgpr_count:     8
    .vgpr_spill_count: 0
    .wavefront_size: 32
    .workgroup_processor_mode: 1
  - .args:
      - .offset:         0
        .size:           8
        .value_kind:     by_value
      - .address_space:  global
        .offset:         8
        .size:           8
        .value_kind:     global_buffer
      - .offset:         16
        .size:           8
        .value_kind:     by_value
      - .address_space:  global
        .offset:         24
        .size:           8
        .value_kind:     global_buffer
      - .offset:         32
        .size:           8
        .value_kind:     by_value
      - .address_space:  global
        .offset:         40
        .size:           8
        .value_kind:     global_buffer
    .group_segment_fixed_size: 8192
    .kernarg_segment_align: 8
    .kernarg_segment_size: 48
    .language:       OpenCL C
    .language_version:
      - 2
      - 0
    .max_flat_workgroup_size: 1024
    .name:           _ZN9rocsparseL20copy_iarray_mix_safeILj1024EllEEvmPT0_mPKT1_mPm
    .private_segment_fixed_size: 0
    .sgpr_count:     18
    .sgpr_spill_count: 0
    .symbol:         _ZN9rocsparseL20copy_iarray_mix_safeILj1024EllEEvmPT0_mPKT1_mPm.kd
    .uniform_work_group_size: 1
    .uses_dynamic_stack: false
    .vgpr_count:     9
    .vgpr_spill_count: 0
    .wavefront_size: 32
    .workgroup_processor_mode: 1
  - .args:
      - .offset:         0
        .size:           8
        .value_kind:     by_value
      - .address_space:  global
        .offset:         8
        .size:           8
        .value_kind:     global_buffer
      - .address_space:  global
        .offset:         16
        .size:           8
        .value_kind:     global_buffer
      - .address_space:  global
        .offset:         24
        .size:           8
        .value_kind:     global_buffer
    .group_segment_fixed_size: 0
    .kernarg_segment_align: 8
    .kernarg_segment_size: 32
    .language:       OpenCL C
    .language_version:
      - 2
      - 0
    .max_flat_workgroup_size: 1024
    .name:           _ZN9rocsparse29copy_farray_mix_safe_kernel_tIaavE3runILj1024EEEvmPaPKaS3_
    .private_segment_fixed_size: 0
    .sgpr_count:     16
    .sgpr_spill_count: 0
    .symbol:         _ZN9rocsparse29copy_farray_mix_safe_kernel_tIaavE3runILj1024EEEvmPaPKaS3_.kd
    .uniform_work_group_size: 1
    .uses_dynamic_stack: false
    .vgpr_count:     3
    .vgpr_spill_count: 0
    .wavefront_size: 32
    .workgroup_processor_mode: 1
  - .args:
      - .offset:         0
        .size:           8
        .value_kind:     by_value
      - .address_space:  global
        .offset:         8
        .size:           8
        .value_kind:     global_buffer
      - .address_space:  global
        .offset:         16
        .size:           8
        .value_kind:     global_buffer
      - .address_space:  global
        .offset:         24
        .size:           8
        .value_kind:     global_buffer
    .group_segment_fixed_size: 0
    .kernarg_segment_align: 8
    .kernarg_segment_size: 32
    .language:       OpenCL C
    .language_version:
      - 2
      - 0
    .max_flat_workgroup_size: 1024
    .name:           _ZN9rocsparse29copy_farray_mix_safe_kernel_tIahvE3runILj1024EEEvmPaPKhPh
    .private_segment_fixed_size: 0
    .sgpr_count:     0
    .sgpr_spill_count: 0
    .symbol:         _ZN9rocsparse29copy_farray_mix_safe_kernel_tIahvE3runILj1024EEEvmPaPKhPh.kd
    .uniform_work_group_size: 1
    .uses_dynamic_stack: false
    .vgpr_count:     0
    .vgpr_spill_count: 0
    .wavefront_size: 32
    .workgroup_processor_mode: 1
  - .args:
      - .offset:         0
        .size:           8
        .value_kind:     by_value
      - .address_space:  global
        .offset:         8
        .size:           8
        .value_kind:     global_buffer
      - .address_space:  global
        .offset:         16
        .size:           8
        .value_kind:     global_buffer
      - .address_space:  global
        .offset:         24
        .size:           8
        .value_kind:     global_buffer
    .group_segment_fixed_size: 0
    .kernarg_segment_align: 8
    .kernarg_segment_size: 32
    .language:       OpenCL C
    .language_version:
      - 2
      - 0
    .max_flat_workgroup_size: 1024
    .name:           _ZN9rocsparse29copy_farray_mix_safe_kernel_tIaivE3runILj1024EEEvmPaPKiPi
    .private_segment_fixed_size: 0
    .sgpr_count:     0
    .sgpr_spill_count: 0
    .symbol:         _ZN9rocsparse29copy_farray_mix_safe_kernel_tIaivE3runILj1024EEEvmPaPKiPi.kd
    .uniform_work_group_size: 1
    .uses_dynamic_stack: false
    .vgpr_count:     0
    .vgpr_spill_count: 0
    .wavefront_size: 32
    .workgroup_processor_mode: 1
  - .args:
      - .offset:         0
        .size:           8
        .value_kind:     by_value
      - .address_space:  global
        .offset:         8
        .size:           8
        .value_kind:     global_buffer
      - .address_space:  global
        .offset:         16
        .size:           8
        .value_kind:     global_buffer
      - .address_space:  global
        .offset:         24
        .size:           8
        .value_kind:     global_buffer
    .group_segment_fixed_size: 0
    .kernarg_segment_align: 8
    .kernarg_segment_size: 32
    .language:       OpenCL C
    .language_version:
      - 2
      - 0
    .max_flat_workgroup_size: 1024
    .name:           _ZN9rocsparse29copy_farray_mix_safe_kernel_tIajvE3runILj1024EEEvmPaPKjPj
    .private_segment_fixed_size: 0
    .sgpr_count:     0
    .sgpr_spill_count: 0
    .symbol:         _ZN9rocsparse29copy_farray_mix_safe_kernel_tIajvE3runILj1024EEEvmPaPKjPj.kd
    .uniform_work_group_size: 1
    .uses_dynamic_stack: false
    .vgpr_count:     0
    .vgpr_spill_count: 0
    .wavefront_size: 32
    .workgroup_processor_mode: 1
  - .args:
      - .offset:         0
        .size:           8
        .value_kind:     by_value
      - .address_space:  global
        .offset:         8
        .size:           8
        .value_kind:     global_buffer
      - .address_space:  global
        .offset:         16
        .size:           8
        .value_kind:     global_buffer
      - .address_space:  global
        .offset:         24
        .size:           8
        .value_kind:     global_buffer
    .group_segment_fixed_size: 0
    .kernarg_segment_align: 8
    .kernarg_segment_size: 32
    .language:       OpenCL C
    .language_version:
      - 2
      - 0
    .max_flat_workgroup_size: 1024
    .name:           _ZN9rocsparse29copy_farray_mix_safe_kernel_tIaDF16_vE3runILj1024EEEvmPaPKDF16_PDF16_
    .private_segment_fixed_size: 0
    .sgpr_count:     0
    .sgpr_spill_count: 0
    .symbol:         _ZN9rocsparse29copy_farray_mix_safe_kernel_tIaDF16_vE3runILj1024EEEvmPaPKDF16_PDF16_.kd
    .uniform_work_group_size: 1
    .uses_dynamic_stack: false
    .vgpr_count:     0
    .vgpr_spill_count: 0
    .wavefront_size: 32
    .workgroup_processor_mode: 1
  - .args:
      - .offset:         0
        .size:           8
        .value_kind:     by_value
      - .address_space:  global
        .offset:         8
        .size:           8
        .value_kind:     global_buffer
      - .address_space:  global
        .offset:         16
        .size:           8
        .value_kind:     global_buffer
      - .address_space:  global
        .offset:         24
        .size:           8
        .value_kind:     global_buffer
    .group_segment_fixed_size: 0
    .kernarg_segment_align: 8
    .kernarg_segment_size: 32
    .language:       OpenCL C
    .language_version:
      - 2
      - 0
    .max_flat_workgroup_size: 1024
    .name:           _ZN9rocsparse29copy_farray_mix_safe_kernel_tIa18rocsparse_bfloat16vE3runILj1024EEEvmPaPKS1_PS1_
    .private_segment_fixed_size: 0
    .sgpr_count:     0
    .sgpr_spill_count: 0
    .symbol:         _ZN9rocsparse29copy_farray_mix_safe_kernel_tIa18rocsparse_bfloat16vE3runILj1024EEEvmPaPKS1_PS1_.kd
    .uniform_work_group_size: 1
    .uses_dynamic_stack: false
    .vgpr_count:     0
    .vgpr_spill_count: 0
    .wavefront_size: 32
    .workgroup_processor_mode: 1
  - .args:
      - .offset:         0
        .size:           8
        .value_kind:     by_value
      - .address_space:  global
        .offset:         8
        .size:           8
        .value_kind:     global_buffer
      - .address_space:  global
        .offset:         16
        .size:           8
        .value_kind:     global_buffer
      - .address_space:  global
        .offset:         24
        .size:           8
        .value_kind:     global_buffer
    .group_segment_fixed_size: 0
    .kernarg_segment_align: 8
    .kernarg_segment_size: 32
    .language:       OpenCL C
    .language_version:
      - 2
      - 0
    .max_flat_workgroup_size: 1024
    .name:           _ZN9rocsparse29copy_farray_mix_safe_kernel_tIafvE3runILj1024EEEvmPaPKfPf
    .private_segment_fixed_size: 0
    .sgpr_count:     0
    .sgpr_spill_count: 0
    .symbol:         _ZN9rocsparse29copy_farray_mix_safe_kernel_tIafvE3runILj1024EEEvmPaPKfPf.kd
    .uniform_work_group_size: 1
    .uses_dynamic_stack: false
    .vgpr_count:     0
    .vgpr_spill_count: 0
    .wavefront_size: 32
    .workgroup_processor_mode: 1
  - .args:
      - .offset:         0
        .size:           8
        .value_kind:     by_value
      - .address_space:  global
        .offset:         8
        .size:           8
        .value_kind:     global_buffer
      - .address_space:  global
        .offset:         16
        .size:           8
        .value_kind:     global_buffer
      - .address_space:  global
        .offset:         24
        .size:           8
        .value_kind:     global_buffer
    .group_segment_fixed_size: 0
    .kernarg_segment_align: 8
    .kernarg_segment_size: 32
    .language:       OpenCL C
    .language_version:
      - 2
      - 0
    .max_flat_workgroup_size: 1024
    .name:           _ZN9rocsparse29copy_farray_mix_safe_kernel_tIadvE3runILj1024EEEvmPaPKdPd
    .private_segment_fixed_size: 0
    .sgpr_count:     0
    .sgpr_spill_count: 0
    .symbol:         _ZN9rocsparse29copy_farray_mix_safe_kernel_tIadvE3runILj1024EEEvmPaPKdPd.kd
    .uniform_work_group_size: 1
    .uses_dynamic_stack: false
    .vgpr_count:     0
    .vgpr_spill_count: 0
    .wavefront_size: 32
    .workgroup_processor_mode: 1
  - .args:
      - .offset:         0
        .size:           8
        .value_kind:     by_value
      - .address_space:  global
        .offset:         8
        .size:           8
        .value_kind:     global_buffer
      - .address_space:  global
        .offset:         16
        .size:           8
        .value_kind:     global_buffer
      - .address_space:  global
        .offset:         24
        .size:           8
        .value_kind:     global_buffer
    .group_segment_fixed_size: 0
    .kernarg_segment_align: 8
    .kernarg_segment_size: 32
    .language:       OpenCL C
    .language_version:
      - 2
      - 0
    .max_flat_workgroup_size: 1024
    .name:           _ZN9rocsparse29copy_farray_mix_safe_kernel_tIa21rocsparse_complex_numIfEvE3runILj1024EEEvmPaPKS2_Pf
    .private_segment_fixed_size: 0
    .sgpr_count:     0
    .sgpr_spill_count: 0
    .symbol:         _ZN9rocsparse29copy_farray_mix_safe_kernel_tIa21rocsparse_complex_numIfEvE3runILj1024EEEvmPaPKS2_Pf.kd
    .uniform_work_group_size: 1
    .uses_dynamic_stack: false
    .vgpr_count:     0
    .vgpr_spill_count: 0
    .wavefront_size: 32
    .workgroup_processor_mode: 1
  - .args:
      - .offset:         0
        .size:           8
        .value_kind:     by_value
      - .address_space:  global
        .offset:         8
        .size:           8
        .value_kind:     global_buffer
      - .address_space:  global
        .offset:         16
        .size:           8
        .value_kind:     global_buffer
      - .address_space:  global
        .offset:         24
        .size:           8
        .value_kind:     global_buffer
    .group_segment_fixed_size: 0
    .kernarg_segment_align: 8
    .kernarg_segment_size: 32
    .language:       OpenCL C
    .language_version:
      - 2
      - 0
    .max_flat_workgroup_size: 1024
    .name:           _ZN9rocsparse29copy_farray_mix_safe_kernel_tIa21rocsparse_complex_numIdEvE3runILj1024EEEvmPaPKS2_Pd
    .private_segment_fixed_size: 0
    .sgpr_count:     0
    .sgpr_spill_count: 0
    .symbol:         _ZN9rocsparse29copy_farray_mix_safe_kernel_tIa21rocsparse_complex_numIdEvE3runILj1024EEEvmPaPKS2_Pd.kd
    .uniform_work_group_size: 1
    .uses_dynamic_stack: false
    .vgpr_count:     0
    .vgpr_spill_count: 0
    .wavefront_size: 32
    .workgroup_processor_mode: 1
  - .args:
      - .offset:         0
        .size:           8
        .value_kind:     by_value
      - .address_space:  global
        .offset:         8
        .size:           8
        .value_kind:     global_buffer
      - .address_space:  global
        .offset:         16
        .size:           8
        .value_kind:     global_buffer
      - .address_space:  global
        .offset:         24
        .size:           8
        .value_kind:     global_buffer
    .group_segment_fixed_size: 0
    .kernarg_segment_align: 8
    .kernarg_segment_size: 32
    .language:       OpenCL C
    .language_version:
      - 2
      - 0
    .max_flat_workgroup_size: 1024
    .name:           _ZN9rocsparse29copy_farray_mix_safe_kernel_tIhavE3runILj1024EEEvmPhPKaPa
    .private_segment_fixed_size: 0
    .sgpr_count:     0
    .sgpr_spill_count: 0
    .symbol:         _ZN9rocsparse29copy_farray_mix_safe_kernel_tIhavE3runILj1024EEEvmPhPKaPa.kd
    .uniform_work_group_size: 1
    .uses_dynamic_stack: false
    .vgpr_count:     0
    .vgpr_spill_count: 0
    .wavefront_size: 32
    .workgroup_processor_mode: 1
  - .args:
      - .offset:         0
        .size:           8
        .value_kind:     by_value
      - .address_space:  global
        .offset:         8
        .size:           8
        .value_kind:     global_buffer
      - .address_space:  global
        .offset:         16
        .size:           8
        .value_kind:     global_buffer
      - .address_space:  global
        .offset:         24
        .size:           8
        .value_kind:     global_buffer
    .group_segment_fixed_size: 0
    .kernarg_segment_align: 8
    .kernarg_segment_size: 32
    .language:       OpenCL C
    .language_version:
      - 2
      - 0
    .max_flat_workgroup_size: 1024
    .name:           _ZN9rocsparse29copy_farray_mix_safe_kernel_tIhhvE3runILj1024EEEvmPhPKhS3_
    .private_segment_fixed_size: 0
    .sgpr_count:     16
    .sgpr_spill_count: 0
    .symbol:         _ZN9rocsparse29copy_farray_mix_safe_kernel_tIhhvE3runILj1024EEEvmPhPKhS3_.kd
    .uniform_work_group_size: 1
    .uses_dynamic_stack: false
    .vgpr_count:     3
    .vgpr_spill_count: 0
    .wavefront_size: 32
    .workgroup_processor_mode: 1
  - .args:
      - .offset:         0
        .size:           8
        .value_kind:     by_value
      - .address_space:  global
        .offset:         8
        .size:           8
        .value_kind:     global_buffer
      - .address_space:  global
        .offset:         16
        .size:           8
        .value_kind:     global_buffer
      - .address_space:  global
        .offset:         24
        .size:           8
        .value_kind:     global_buffer
    .group_segment_fixed_size: 0
    .kernarg_segment_align: 8
    .kernarg_segment_size: 32
    .language:       OpenCL C
    .language_version:
      - 2
      - 0
    .max_flat_workgroup_size: 1024
    .name:           _ZN9rocsparse29copy_farray_mix_safe_kernel_tIhivE3runILj1024EEEvmPhPKiPi
    .private_segment_fixed_size: 0
    .sgpr_count:     0
    .sgpr_spill_count: 0
    .symbol:         _ZN9rocsparse29copy_farray_mix_safe_kernel_tIhivE3runILj1024EEEvmPhPKiPi.kd
    .uniform_work_group_size: 1
    .uses_dynamic_stack: false
    .vgpr_count:     0
    .vgpr_spill_count: 0
    .wavefront_size: 32
    .workgroup_processor_mode: 1
  - .args:
      - .offset:         0
        .size:           8
        .value_kind:     by_value
      - .address_space:  global
        .offset:         8
        .size:           8
        .value_kind:     global_buffer
      - .address_space:  global
        .offset:         16
        .size:           8
        .value_kind:     global_buffer
      - .address_space:  global
        .offset:         24
        .size:           8
        .value_kind:     global_buffer
    .group_segment_fixed_size: 0
    .kernarg_segment_align: 8
    .kernarg_segment_size: 32
    .language:       OpenCL C
    .language_version:
      - 2
      - 0
    .max_flat_workgroup_size: 1024
    .name:           _ZN9rocsparse29copy_farray_mix_safe_kernel_tIhjvE3runILj1024EEEvmPhPKjPj
    .private_segment_fixed_size: 0
    .sgpr_count:     0
    .sgpr_spill_count: 0
    .symbol:         _ZN9rocsparse29copy_farray_mix_safe_kernel_tIhjvE3runILj1024EEEvmPhPKjPj.kd
    .uniform_work_group_size: 1
    .uses_dynamic_stack: false
    .vgpr_count:     0
    .vgpr_spill_count: 0
    .wavefront_size: 32
    .workgroup_processor_mode: 1
  - .args:
      - .offset:         0
        .size:           8
        .value_kind:     by_value
      - .address_space:  global
        .offset:         8
        .size:           8
        .value_kind:     global_buffer
      - .address_space:  global
        .offset:         16
        .size:           8
        .value_kind:     global_buffer
      - .address_space:  global
        .offset:         24
        .size:           8
        .value_kind:     global_buffer
    .group_segment_fixed_size: 0
    .kernarg_segment_align: 8
    .kernarg_segment_size: 32
    .language:       OpenCL C
    .language_version:
      - 2
      - 0
    .max_flat_workgroup_size: 1024
    .name:           _ZN9rocsparse29copy_farray_mix_safe_kernel_tIhDF16_vE3runILj1024EEEvmPhPKDF16_PDF16_
    .private_segment_fixed_size: 0
    .sgpr_count:     0
    .sgpr_spill_count: 0
    .symbol:         _ZN9rocsparse29copy_farray_mix_safe_kernel_tIhDF16_vE3runILj1024EEEvmPhPKDF16_PDF16_.kd
    .uniform_work_group_size: 1
    .uses_dynamic_stack: false
    .vgpr_count:     0
    .vgpr_spill_count: 0
    .wavefront_size: 32
    .workgroup_processor_mode: 1
  - .args:
      - .offset:         0
        .size:           8
        .value_kind:     by_value
      - .address_space:  global
        .offset:         8
        .size:           8
        .value_kind:     global_buffer
      - .address_space:  global
        .offset:         16
        .size:           8
        .value_kind:     global_buffer
      - .address_space:  global
        .offset:         24
        .size:           8
        .value_kind:     global_buffer
    .group_segment_fixed_size: 0
    .kernarg_segment_align: 8
    .kernarg_segment_size: 32
    .language:       OpenCL C
    .language_version:
      - 2
      - 0
    .max_flat_workgroup_size: 1024
    .name:           _ZN9rocsparse29copy_farray_mix_safe_kernel_tIh18rocsparse_bfloat16vE3runILj1024EEEvmPhPKS1_PS1_
    .private_segment_fixed_size: 0
    .sgpr_count:     0
    .sgpr_spill_count: 0
    .symbol:         _ZN9rocsparse29copy_farray_mix_safe_kernel_tIh18rocsparse_bfloat16vE3runILj1024EEEvmPhPKS1_PS1_.kd
    .uniform_work_group_size: 1
    .uses_dynamic_stack: false
    .vgpr_count:     0
    .vgpr_spill_count: 0
    .wavefront_size: 32
    .workgroup_processor_mode: 1
  - .args:
      - .offset:         0
        .size:           8
        .value_kind:     by_value
      - .address_space:  global
        .offset:         8
        .size:           8
        .value_kind:     global_buffer
      - .address_space:  global
        .offset:         16
        .size:           8
        .value_kind:     global_buffer
      - .address_space:  global
        .offset:         24
        .size:           8
        .value_kind:     global_buffer
    .group_segment_fixed_size: 0
    .kernarg_segment_align: 8
    .kernarg_segment_size: 32
    .language:       OpenCL C
    .language_version:
      - 2
      - 0
    .max_flat_workgroup_size: 1024
    .name:           _ZN9rocsparse29copy_farray_mix_safe_kernel_tIhfvE3runILj1024EEEvmPhPKfPf
    .private_segment_fixed_size: 0
    .sgpr_count:     0
    .sgpr_spill_count: 0
    .symbol:         _ZN9rocsparse29copy_farray_mix_safe_kernel_tIhfvE3runILj1024EEEvmPhPKfPf.kd
    .uniform_work_group_size: 1
    .uses_dynamic_stack: false
    .vgpr_count:     0
    .vgpr_spill_count: 0
    .wavefront_size: 32
    .workgroup_processor_mode: 1
  - .args:
      - .offset:         0
        .size:           8
        .value_kind:     by_value
      - .address_space:  global
        .offset:         8
        .size:           8
        .value_kind:     global_buffer
      - .address_space:  global
        .offset:         16
        .size:           8
        .value_kind:     global_buffer
      - .address_space:  global
        .offset:         24
        .size:           8
        .value_kind:     global_buffer
    .group_segment_fixed_size: 0
    .kernarg_segment_align: 8
    .kernarg_segment_size: 32
    .language:       OpenCL C
    .language_version:
      - 2
      - 0
    .max_flat_workgroup_size: 1024
    .name:           _ZN9rocsparse29copy_farray_mix_safe_kernel_tIhdvE3runILj1024EEEvmPhPKdPd
    .private_segment_fixed_size: 0
    .sgpr_count:     0
    .sgpr_spill_count: 0
    .symbol:         _ZN9rocsparse29copy_farray_mix_safe_kernel_tIhdvE3runILj1024EEEvmPhPKdPd.kd
    .uniform_work_group_size: 1
    .uses_dynamic_stack: false
    .vgpr_count:     0
    .vgpr_spill_count: 0
    .wavefront_size: 32
    .workgroup_processor_mode: 1
  - .args:
      - .offset:         0
        .size:           8
        .value_kind:     by_value
      - .address_space:  global
        .offset:         8
        .size:           8
        .value_kind:     global_buffer
      - .address_space:  global
        .offset:         16
        .size:           8
        .value_kind:     global_buffer
      - .address_space:  global
        .offset:         24
        .size:           8
        .value_kind:     global_buffer
    .group_segment_fixed_size: 0
    .kernarg_segment_align: 8
    .kernarg_segment_size: 32
    .language:       OpenCL C
    .language_version:
      - 2
      - 0
    .max_flat_workgroup_size: 1024
    .name:           _ZN9rocsparse29copy_farray_mix_safe_kernel_tIh21rocsparse_complex_numIfEvE3runILj1024EEEvmPhPKS2_Pf
    .private_segment_fixed_size: 0
    .sgpr_count:     0
    .sgpr_spill_count: 0
    .symbol:         _ZN9rocsparse29copy_farray_mix_safe_kernel_tIh21rocsparse_complex_numIfEvE3runILj1024EEEvmPhPKS2_Pf.kd
    .uniform_work_group_size: 1
    .uses_dynamic_stack: false
    .vgpr_count:     0
    .vgpr_spill_count: 0
    .wavefront_size: 32
    .workgroup_processor_mode: 1
  - .args:
      - .offset:         0
        .size:           8
        .value_kind:     by_value
      - .address_space:  global
        .offset:         8
        .size:           8
        .value_kind:     global_buffer
      - .address_space:  global
        .offset:         16
        .size:           8
        .value_kind:     global_buffer
      - .address_space:  global
        .offset:         24
        .size:           8
        .value_kind:     global_buffer
    .group_segment_fixed_size: 0
    .kernarg_segment_align: 8
    .kernarg_segment_size: 32
    .language:       OpenCL C
    .language_version:
      - 2
      - 0
    .max_flat_workgroup_size: 1024
    .name:           _ZN9rocsparse29copy_farray_mix_safe_kernel_tIh21rocsparse_complex_numIdEvE3runILj1024EEEvmPhPKS2_Pd
    .private_segment_fixed_size: 0
    .sgpr_count:     0
    .sgpr_spill_count: 0
    .symbol:         _ZN9rocsparse29copy_farray_mix_safe_kernel_tIh21rocsparse_complex_numIdEvE3runILj1024EEEvmPhPKS2_Pd.kd
    .uniform_work_group_size: 1
    .uses_dynamic_stack: false
    .vgpr_count:     0
    .vgpr_spill_count: 0
    .wavefront_size: 32
    .workgroup_processor_mode: 1
  - .args:
      - .offset:         0
        .size:           8
        .value_kind:     by_value
      - .address_space:  global
        .offset:         8
        .size:           8
        .value_kind:     global_buffer
      - .address_space:  global
        .offset:         16
        .size:           8
        .value_kind:     global_buffer
      - .address_space:  global
        .offset:         24
        .size:           8
        .value_kind:     global_buffer
    .group_segment_fixed_size: 0
    .kernarg_segment_align: 8
    .kernarg_segment_size: 32
    .language:       OpenCL C
    .language_version:
      - 2
      - 0
    .max_flat_workgroup_size: 1024
    .name:           _ZN9rocsparse29copy_farray_mix_safe_kernel_tIiavE3runILj1024EEEvmPiPKaPa
    .private_segment_fixed_size: 0
    .sgpr_count:     0
    .sgpr_spill_count: 0
    .symbol:         _ZN9rocsparse29copy_farray_mix_safe_kernel_tIiavE3runILj1024EEEvmPiPKaPa.kd
    .uniform_work_group_size: 1
    .uses_dynamic_stack: false
    .vgpr_count:     0
    .vgpr_spill_count: 0
    .wavefront_size: 32
    .workgroup_processor_mode: 1
  - .args:
      - .offset:         0
        .size:           8
        .value_kind:     by_value
      - .address_space:  global
        .offset:         8
        .size:           8
        .value_kind:     global_buffer
      - .address_space:  global
        .offset:         16
        .size:           8
        .value_kind:     global_buffer
      - .address_space:  global
        .offset:         24
        .size:           8
        .value_kind:     global_buffer
    .group_segment_fixed_size: 0
    .kernarg_segment_align: 8
    .kernarg_segment_size: 32
    .language:       OpenCL C
    .language_version:
      - 2
      - 0
    .max_flat_workgroup_size: 1024
    .name:           _ZN9rocsparse29copy_farray_mix_safe_kernel_tIihvE3runILj1024EEEvmPiPKhPh
    .private_segment_fixed_size: 0
    .sgpr_count:     0
    .sgpr_spill_count: 0
    .symbol:         _ZN9rocsparse29copy_farray_mix_safe_kernel_tIihvE3runILj1024EEEvmPiPKhPh.kd
    .uniform_work_group_size: 1
    .uses_dynamic_stack: false
    .vgpr_count:     0
    .vgpr_spill_count: 0
    .wavefront_size: 32
    .workgroup_processor_mode: 1
  - .args:
      - .offset:         0
        .size:           8
        .value_kind:     by_value
      - .address_space:  global
        .offset:         8
        .size:           8
        .value_kind:     global_buffer
      - .address_space:  global
        .offset:         16
        .size:           8
        .value_kind:     global_buffer
      - .address_space:  global
        .offset:         24
        .size:           8
        .value_kind:     global_buffer
    .group_segment_fixed_size: 0
    .kernarg_segment_align: 8
    .kernarg_segment_size: 32
    .language:       OpenCL C
    .language_version:
      - 2
      - 0
    .max_flat_workgroup_size: 1024
    .name:           _ZN9rocsparse29copy_farray_mix_safe_kernel_tIiivE3runILj1024EEEvmPiPKiS3_
    .private_segment_fixed_size: 0
    .sgpr_count:     18
    .sgpr_spill_count: 0
    .symbol:         _ZN9rocsparse29copy_farray_mix_safe_kernel_tIiivE3runILj1024EEEvmPiPKiS3_.kd
    .uniform_work_group_size: 1
    .uses_dynamic_stack: false
    .vgpr_count:     4
    .vgpr_spill_count: 0
    .wavefront_size: 32
    .workgroup_processor_mode: 1
  - .args:
      - .offset:         0
        .size:           8
        .value_kind:     by_value
      - .address_space:  global
        .offset:         8
        .size:           8
        .value_kind:     global_buffer
      - .address_space:  global
        .offset:         16
        .size:           8
        .value_kind:     global_buffer
      - .address_space:  global
        .offset:         24
        .size:           8
        .value_kind:     global_buffer
    .group_segment_fixed_size: 0
    .kernarg_segment_align: 8
    .kernarg_segment_size: 32
    .language:       OpenCL C
    .language_version:
      - 2
      - 0
    .max_flat_workgroup_size: 1024
    .name:           _ZN9rocsparse29copy_farray_mix_safe_kernel_tIijvE3runILj1024EEEvmPiPKjPj
    .private_segment_fixed_size: 0
    .sgpr_count:     0
    .sgpr_spill_count: 0
    .symbol:         _ZN9rocsparse29copy_farray_mix_safe_kernel_tIijvE3runILj1024EEEvmPiPKjPj.kd
    .uniform_work_group_size: 1
    .uses_dynamic_stack: false
    .vgpr_count:     0
    .vgpr_spill_count: 0
    .wavefront_size: 32
    .workgroup_processor_mode: 1
  - .args:
      - .offset:         0
        .size:           8
        .value_kind:     by_value
      - .address_space:  global
        .offset:         8
        .size:           8
        .value_kind:     global_buffer
      - .address_space:  global
        .offset:         16
        .size:           8
        .value_kind:     global_buffer
      - .address_space:  global
        .offset:         24
        .size:           8
        .value_kind:     global_buffer
    .group_segment_fixed_size: 0
    .kernarg_segment_align: 8
    .kernarg_segment_size: 32
    .language:       OpenCL C
    .language_version:
      - 2
      - 0
    .max_flat_workgroup_size: 1024
    .name:           _ZN9rocsparse29copy_farray_mix_safe_kernel_tIiDF16_vE3runILj1024EEEvmPiPKDF16_PDF16_
    .private_segment_fixed_size: 0
    .sgpr_count:     0
    .sgpr_spill_count: 0
    .symbol:         _ZN9rocsparse29copy_farray_mix_safe_kernel_tIiDF16_vE3runILj1024EEEvmPiPKDF16_PDF16_.kd
    .uniform_work_group_size: 1
    .uses_dynamic_stack: false
    .vgpr_count:     0
    .vgpr_spill_count: 0
    .wavefront_size: 32
    .workgroup_processor_mode: 1
  - .args:
      - .offset:         0
        .size:           8
        .value_kind:     by_value
      - .address_space:  global
        .offset:         8
        .size:           8
        .value_kind:     global_buffer
      - .address_space:  global
        .offset:         16
        .size:           8
        .value_kind:     global_buffer
      - .address_space:  global
        .offset:         24
        .size:           8
        .value_kind:     global_buffer
    .group_segment_fixed_size: 0
    .kernarg_segment_align: 8
    .kernarg_segment_size: 32
    .language:       OpenCL C
    .language_version:
      - 2
      - 0
    .max_flat_workgroup_size: 1024
    .name:           _ZN9rocsparse29copy_farray_mix_safe_kernel_tIi18rocsparse_bfloat16vE3runILj1024EEEvmPiPKS1_PS1_
    .private_segment_fixed_size: 0
    .sgpr_count:     0
    .sgpr_spill_count: 0
    .symbol:         _ZN9rocsparse29copy_farray_mix_safe_kernel_tIi18rocsparse_bfloat16vE3runILj1024EEEvmPiPKS1_PS1_.kd
    .uniform_work_group_size: 1
    .uses_dynamic_stack: false
    .vgpr_count:     0
    .vgpr_spill_count: 0
    .wavefront_size: 32
    .workgroup_processor_mode: 1
  - .args:
      - .offset:         0
        .size:           8
        .value_kind:     by_value
      - .address_space:  global
        .offset:         8
        .size:           8
        .value_kind:     global_buffer
      - .address_space:  global
        .offset:         16
        .size:           8
        .value_kind:     global_buffer
      - .address_space:  global
        .offset:         24
        .size:           8
        .value_kind:     global_buffer
    .group_segment_fixed_size: 0
    .kernarg_segment_align: 8
    .kernarg_segment_size: 32
    .language:       OpenCL C
    .language_version:
      - 2
      - 0
    .max_flat_workgroup_size: 1024
    .name:           _ZN9rocsparse29copy_farray_mix_safe_kernel_tIifvE3runILj1024EEEvmPiPKfPf
    .private_segment_fixed_size: 0
    .sgpr_count:     0
    .sgpr_spill_count: 0
    .symbol:         _ZN9rocsparse29copy_farray_mix_safe_kernel_tIifvE3runILj1024EEEvmPiPKfPf.kd
    .uniform_work_group_size: 1
    .uses_dynamic_stack: false
    .vgpr_count:     0
    .vgpr_spill_count: 0
    .wavefront_size: 32
    .workgroup_processor_mode: 1
  - .args:
      - .offset:         0
        .size:           8
        .value_kind:     by_value
      - .address_space:  global
        .offset:         8
        .size:           8
        .value_kind:     global_buffer
      - .address_space:  global
        .offset:         16
        .size:           8
        .value_kind:     global_buffer
      - .address_space:  global
        .offset:         24
        .size:           8
        .value_kind:     global_buffer
    .group_segment_fixed_size: 0
    .kernarg_segment_align: 8
    .kernarg_segment_size: 32
    .language:       OpenCL C
    .language_version:
      - 2
      - 0
    .max_flat_workgroup_size: 1024
    .name:           _ZN9rocsparse29copy_farray_mix_safe_kernel_tIidvE3runILj1024EEEvmPiPKdPd
    .private_segment_fixed_size: 0
    .sgpr_count:     0
    .sgpr_spill_count: 0
    .symbol:         _ZN9rocsparse29copy_farray_mix_safe_kernel_tIidvE3runILj1024EEEvmPiPKdPd.kd
    .uniform_work_group_size: 1
    .uses_dynamic_stack: false
    .vgpr_count:     0
    .vgpr_spill_count: 0
    .wavefront_size: 32
    .workgroup_processor_mode: 1
  - .args:
      - .offset:         0
        .size:           8
        .value_kind:     by_value
      - .address_space:  global
        .offset:         8
        .size:           8
        .value_kind:     global_buffer
      - .address_space:  global
        .offset:         16
        .size:           8
        .value_kind:     global_buffer
      - .address_space:  global
        .offset:         24
        .size:           8
        .value_kind:     global_buffer
    .group_segment_fixed_size: 0
    .kernarg_segment_align: 8
    .kernarg_segment_size: 32
    .language:       OpenCL C
    .language_version:
      - 2
      - 0
    .max_flat_workgroup_size: 1024
    .name:           _ZN9rocsparse29copy_farray_mix_safe_kernel_tIi21rocsparse_complex_numIfEvE3runILj1024EEEvmPiPKS2_Pf
    .private_segment_fixed_size: 0
    .sgpr_count:     0
    .sgpr_spill_count: 0
    .symbol:         _ZN9rocsparse29copy_farray_mix_safe_kernel_tIi21rocsparse_complex_numIfEvE3runILj1024EEEvmPiPKS2_Pf.kd
    .uniform_work_group_size: 1
    .uses_dynamic_stack: false
    .vgpr_count:     0
    .vgpr_spill_count: 0
    .wavefront_size: 32
    .workgroup_processor_mode: 1
  - .args:
      - .offset:         0
        .size:           8
        .value_kind:     by_value
      - .address_space:  global
        .offset:         8
        .size:           8
        .value_kind:     global_buffer
      - .address_space:  global
        .offset:         16
        .size:           8
        .value_kind:     global_buffer
      - .address_space:  global
        .offset:         24
        .size:           8
        .value_kind:     global_buffer
    .group_segment_fixed_size: 0
    .kernarg_segment_align: 8
    .kernarg_segment_size: 32
    .language:       OpenCL C
    .language_version:
      - 2
      - 0
    .max_flat_workgroup_size: 1024
    .name:           _ZN9rocsparse29copy_farray_mix_safe_kernel_tIi21rocsparse_complex_numIdEvE3runILj1024EEEvmPiPKS2_Pd
    .private_segment_fixed_size: 0
    .sgpr_count:     0
    .sgpr_spill_count: 0
    .symbol:         _ZN9rocsparse29copy_farray_mix_safe_kernel_tIi21rocsparse_complex_numIdEvE3runILj1024EEEvmPiPKS2_Pd.kd
    .uniform_work_group_size: 1
    .uses_dynamic_stack: false
    .vgpr_count:     0
    .vgpr_spill_count: 0
    .wavefront_size: 32
    .workgroup_processor_mode: 1
  - .args:
      - .offset:         0
        .size:           8
        .value_kind:     by_value
      - .address_space:  global
        .offset:         8
        .size:           8
        .value_kind:     global_buffer
      - .address_space:  global
        .offset:         16
        .size:           8
        .value_kind:     global_buffer
      - .address_space:  global
        .offset:         24
        .size:           8
        .value_kind:     global_buffer
    .group_segment_fixed_size: 0
    .kernarg_segment_align: 8
    .kernarg_segment_size: 32
    .language:       OpenCL C
    .language_version:
      - 2
      - 0
    .max_flat_workgroup_size: 1024
    .name:           _ZN9rocsparse29copy_farray_mix_safe_kernel_tIjavE3runILj1024EEEvmPjPKaPa
    .private_segment_fixed_size: 0
    .sgpr_count:     0
    .sgpr_spill_count: 0
    .symbol:         _ZN9rocsparse29copy_farray_mix_safe_kernel_tIjavE3runILj1024EEEvmPjPKaPa.kd
    .uniform_work_group_size: 1
    .uses_dynamic_stack: false
    .vgpr_count:     0
    .vgpr_spill_count: 0
    .wavefront_size: 32
    .workgroup_processor_mode: 1
  - .args:
      - .offset:         0
        .size:           8
        .value_kind:     by_value
      - .address_space:  global
        .offset:         8
        .size:           8
        .value_kind:     global_buffer
      - .address_space:  global
        .offset:         16
        .size:           8
        .value_kind:     global_buffer
      - .address_space:  global
        .offset:         24
        .size:           8
        .value_kind:     global_buffer
    .group_segment_fixed_size: 0
    .kernarg_segment_align: 8
    .kernarg_segment_size: 32
    .language:       OpenCL C
    .language_version:
      - 2
      - 0
    .max_flat_workgroup_size: 1024
    .name:           _ZN9rocsparse29copy_farray_mix_safe_kernel_tIjhvE3runILj1024EEEvmPjPKhPh
    .private_segment_fixed_size: 0
    .sgpr_count:     0
    .sgpr_spill_count: 0
    .symbol:         _ZN9rocsparse29copy_farray_mix_safe_kernel_tIjhvE3runILj1024EEEvmPjPKhPh.kd
    .uniform_work_group_size: 1
    .uses_dynamic_stack: false
    .vgpr_count:     0
    .vgpr_spill_count: 0
    .wavefront_size: 32
    .workgroup_processor_mode: 1
  - .args:
      - .offset:         0
        .size:           8
        .value_kind:     by_value
      - .address_space:  global
        .offset:         8
        .size:           8
        .value_kind:     global_buffer
      - .address_space:  global
        .offset:         16
        .size:           8
        .value_kind:     global_buffer
      - .address_space:  global
        .offset:         24
        .size:           8
        .value_kind:     global_buffer
    .group_segment_fixed_size: 0
    .kernarg_segment_align: 8
    .kernarg_segment_size: 32
    .language:       OpenCL C
    .language_version:
      - 2
      - 0
    .max_flat_workgroup_size: 1024
    .name:           _ZN9rocsparse29copy_farray_mix_safe_kernel_tIjivE3runILj1024EEEvmPjPKiPi
    .private_segment_fixed_size: 0
    .sgpr_count:     0
    .sgpr_spill_count: 0
    .symbol:         _ZN9rocsparse29copy_farray_mix_safe_kernel_tIjivE3runILj1024EEEvmPjPKiPi.kd
    .uniform_work_group_size: 1
    .uses_dynamic_stack: false
    .vgpr_count:     0
    .vgpr_spill_count: 0
    .wavefront_size: 32
    .workgroup_processor_mode: 1
  - .args:
      - .offset:         0
        .size:           8
        .value_kind:     by_value
      - .address_space:  global
        .offset:         8
        .size:           8
        .value_kind:     global_buffer
      - .address_space:  global
        .offset:         16
        .size:           8
        .value_kind:     global_buffer
      - .address_space:  global
        .offset:         24
        .size:           8
        .value_kind:     global_buffer
    .group_segment_fixed_size: 0
    .kernarg_segment_align: 8
    .kernarg_segment_size: 32
    .language:       OpenCL C
    .language_version:
      - 2
      - 0
    .max_flat_workgroup_size: 1024
    .name:           _ZN9rocsparse29copy_farray_mix_safe_kernel_tIjjvE3runILj1024EEEvmPjPKjS3_
    .private_segment_fixed_size: 0
    .sgpr_count:     18
    .sgpr_spill_count: 0
    .symbol:         _ZN9rocsparse29copy_farray_mix_safe_kernel_tIjjvE3runILj1024EEEvmPjPKjS3_.kd
    .uniform_work_group_size: 1
    .uses_dynamic_stack: false
    .vgpr_count:     4
    .vgpr_spill_count: 0
    .wavefront_size: 32
    .workgroup_processor_mode: 1
  - .args:
      - .offset:         0
        .size:           8
        .value_kind:     by_value
      - .address_space:  global
        .offset:         8
        .size:           8
        .value_kind:     global_buffer
      - .address_space:  global
        .offset:         16
        .size:           8
        .value_kind:     global_buffer
      - .address_space:  global
        .offset:         24
        .size:           8
        .value_kind:     global_buffer
    .group_segment_fixed_size: 0
    .kernarg_segment_align: 8
    .kernarg_segment_size: 32
    .language:       OpenCL C
    .language_version:
      - 2
      - 0
    .max_flat_workgroup_size: 1024
    .name:           _ZN9rocsparse29copy_farray_mix_safe_kernel_tIjDF16_vE3runILj1024EEEvmPjPKDF16_PDF16_
    .private_segment_fixed_size: 0
    .sgpr_count:     0
    .sgpr_spill_count: 0
    .symbol:         _ZN9rocsparse29copy_farray_mix_safe_kernel_tIjDF16_vE3runILj1024EEEvmPjPKDF16_PDF16_.kd
    .uniform_work_group_size: 1
    .uses_dynamic_stack: false
    .vgpr_count:     0
    .vgpr_spill_count: 0
    .wavefront_size: 32
    .workgroup_processor_mode: 1
  - .args:
      - .offset:         0
        .size:           8
        .value_kind:     by_value
      - .address_space:  global
        .offset:         8
        .size:           8
        .value_kind:     global_buffer
      - .address_space:  global
        .offset:         16
        .size:           8
        .value_kind:     global_buffer
      - .address_space:  global
        .offset:         24
        .size:           8
        .value_kind:     global_buffer
    .group_segment_fixed_size: 0
    .kernarg_segment_align: 8
    .kernarg_segment_size: 32
    .language:       OpenCL C
    .language_version:
      - 2
      - 0
    .max_flat_workgroup_size: 1024
    .name:           _ZN9rocsparse29copy_farray_mix_safe_kernel_tIj18rocsparse_bfloat16vE3runILj1024EEEvmPjPKS1_PS1_
    .private_segment_fixed_size: 0
    .sgpr_count:     0
    .sgpr_spill_count: 0
    .symbol:         _ZN9rocsparse29copy_farray_mix_safe_kernel_tIj18rocsparse_bfloat16vE3runILj1024EEEvmPjPKS1_PS1_.kd
    .uniform_work_group_size: 1
    .uses_dynamic_stack: false
    .vgpr_count:     0
    .vgpr_spill_count: 0
    .wavefront_size: 32
    .workgroup_processor_mode: 1
  - .args:
      - .offset:         0
        .size:           8
        .value_kind:     by_value
      - .address_space:  global
        .offset:         8
        .size:           8
        .value_kind:     global_buffer
      - .address_space:  global
        .offset:         16
        .size:           8
        .value_kind:     global_buffer
      - .address_space:  global
        .offset:         24
        .size:           8
        .value_kind:     global_buffer
    .group_segment_fixed_size: 0
    .kernarg_segment_align: 8
    .kernarg_segment_size: 32
    .language:       OpenCL C
    .language_version:
      - 2
      - 0
    .max_flat_workgroup_size: 1024
    .name:           _ZN9rocsparse29copy_farray_mix_safe_kernel_tIjfvE3runILj1024EEEvmPjPKfPf
    .private_segment_fixed_size: 0
    .sgpr_count:     0
    .sgpr_spill_count: 0
    .symbol:         _ZN9rocsparse29copy_farray_mix_safe_kernel_tIjfvE3runILj1024EEEvmPjPKfPf.kd
    .uniform_work_group_size: 1
    .uses_dynamic_stack: false
    .vgpr_count:     0
    .vgpr_spill_count: 0
    .wavefront_size: 32
    .workgroup_processor_mode: 1
  - .args:
      - .offset:         0
        .size:           8
        .value_kind:     by_value
      - .address_space:  global
        .offset:         8
        .size:           8
        .value_kind:     global_buffer
      - .address_space:  global
        .offset:         16
        .size:           8
        .value_kind:     global_buffer
      - .address_space:  global
        .offset:         24
        .size:           8
        .value_kind:     global_buffer
    .group_segment_fixed_size: 0
    .kernarg_segment_align: 8
    .kernarg_segment_size: 32
    .language:       OpenCL C
    .language_version:
      - 2
      - 0
    .max_flat_workgroup_size: 1024
    .name:           _ZN9rocsparse29copy_farray_mix_safe_kernel_tIjdvE3runILj1024EEEvmPjPKdPd
    .private_segment_fixed_size: 0
    .sgpr_count:     0
    .sgpr_spill_count: 0
    .symbol:         _ZN9rocsparse29copy_farray_mix_safe_kernel_tIjdvE3runILj1024EEEvmPjPKdPd.kd
    .uniform_work_group_size: 1
    .uses_dynamic_stack: false
    .vgpr_count:     0
    .vgpr_spill_count: 0
    .wavefront_size: 32
    .workgroup_processor_mode: 1
  - .args:
      - .offset:         0
        .size:           8
        .value_kind:     by_value
      - .address_space:  global
        .offset:         8
        .size:           8
        .value_kind:     global_buffer
      - .address_space:  global
        .offset:         16
        .size:           8
        .value_kind:     global_buffer
      - .address_space:  global
        .offset:         24
        .size:           8
        .value_kind:     global_buffer
    .group_segment_fixed_size: 0
    .kernarg_segment_align: 8
    .kernarg_segment_size: 32
    .language:       OpenCL C
    .language_version:
      - 2
      - 0
    .max_flat_workgroup_size: 1024
    .name:           _ZN9rocsparse29copy_farray_mix_safe_kernel_tIj21rocsparse_complex_numIfEvE3runILj1024EEEvmPjPKS2_Pf
    .private_segment_fixed_size: 0
    .sgpr_count:     0
    .sgpr_spill_count: 0
    .symbol:         _ZN9rocsparse29copy_farray_mix_safe_kernel_tIj21rocsparse_complex_numIfEvE3runILj1024EEEvmPjPKS2_Pf.kd
    .uniform_work_group_size: 1
    .uses_dynamic_stack: false
    .vgpr_count:     0
    .vgpr_spill_count: 0
    .wavefront_size: 32
    .workgroup_processor_mode: 1
  - .args:
      - .offset:         0
        .size:           8
        .value_kind:     by_value
      - .address_space:  global
        .offset:         8
        .size:           8
        .value_kind:     global_buffer
      - .address_space:  global
        .offset:         16
        .size:           8
        .value_kind:     global_buffer
      - .address_space:  global
        .offset:         24
        .size:           8
        .value_kind:     global_buffer
    .group_segment_fixed_size: 0
    .kernarg_segment_align: 8
    .kernarg_segment_size: 32
    .language:       OpenCL C
    .language_version:
      - 2
      - 0
    .max_flat_workgroup_size: 1024
    .name:           _ZN9rocsparse29copy_farray_mix_safe_kernel_tIj21rocsparse_complex_numIdEvE3runILj1024EEEvmPjPKS2_Pd
    .private_segment_fixed_size: 0
    .sgpr_count:     0
    .sgpr_spill_count: 0
    .symbol:         _ZN9rocsparse29copy_farray_mix_safe_kernel_tIj21rocsparse_complex_numIdEvE3runILj1024EEEvmPjPKS2_Pd.kd
    .uniform_work_group_size: 1
    .uses_dynamic_stack: false
    .vgpr_count:     0
    .vgpr_spill_count: 0
    .wavefront_size: 32
    .workgroup_processor_mode: 1
  - .args:
      - .offset:         0
        .size:           8
        .value_kind:     by_value
      - .address_space:  global
        .offset:         8
        .size:           8
        .value_kind:     global_buffer
      - .address_space:  global
        .offset:         16
        .size:           8
        .value_kind:     global_buffer
      - .address_space:  global
        .offset:         24
        .size:           8
        .value_kind:     global_buffer
    .group_segment_fixed_size: 0
    .kernarg_segment_align: 8
    .kernarg_segment_size: 32
    .language:       OpenCL C
    .language_version:
      - 2
      - 0
    .max_flat_workgroup_size: 1024
    .name:           _ZN9rocsparse29copy_farray_mix_safe_kernel_tIDF16_avE3runILj1024EEEvmPDF16_PKaPa
    .private_segment_fixed_size: 0
    .sgpr_count:     0
    .sgpr_spill_count: 0
    .symbol:         _ZN9rocsparse29copy_farray_mix_safe_kernel_tIDF16_avE3runILj1024EEEvmPDF16_PKaPa.kd
    .uniform_work_group_size: 1
    .uses_dynamic_stack: false
    .vgpr_count:     0
    .vgpr_spill_count: 0
    .wavefront_size: 32
    .workgroup_processor_mode: 1
  - .args:
      - .offset:         0
        .size:           8
        .value_kind:     by_value
      - .address_space:  global
        .offset:         8
        .size:           8
        .value_kind:     global_buffer
      - .address_space:  global
        .offset:         16
        .size:           8
        .value_kind:     global_buffer
      - .address_space:  global
        .offset:         24
        .size:           8
        .value_kind:     global_buffer
    .group_segment_fixed_size: 0
    .kernarg_segment_align: 8
    .kernarg_segment_size: 32
    .language:       OpenCL C
    .language_version:
      - 2
      - 0
    .max_flat_workgroup_size: 1024
    .name:           _ZN9rocsparse29copy_farray_mix_safe_kernel_tIDF16_hvE3runILj1024EEEvmPDF16_PKhPh
    .private_segment_fixed_size: 0
    .sgpr_count:     0
    .sgpr_spill_count: 0
    .symbol:         _ZN9rocsparse29copy_farray_mix_safe_kernel_tIDF16_hvE3runILj1024EEEvmPDF16_PKhPh.kd
    .uniform_work_group_size: 1
    .uses_dynamic_stack: false
    .vgpr_count:     0
    .vgpr_spill_count: 0
    .wavefront_size: 32
    .workgroup_processor_mode: 1
  - .args:
      - .offset:         0
        .size:           8
        .value_kind:     by_value
      - .address_space:  global
        .offset:         8
        .size:           8
        .value_kind:     global_buffer
      - .address_space:  global
        .offset:         16
        .size:           8
        .value_kind:     global_buffer
      - .address_space:  global
        .offset:         24
        .size:           8
        .value_kind:     global_buffer
    .group_segment_fixed_size: 0
    .kernarg_segment_align: 8
    .kernarg_segment_size: 32
    .language:       OpenCL C
    .language_version:
      - 2
      - 0
    .max_flat_workgroup_size: 1024
    .name:           _ZN9rocsparse29copy_farray_mix_safe_kernel_tIDF16_ivE3runILj1024EEEvmPDF16_PKiPi
    .private_segment_fixed_size: 0
    .sgpr_count:     0
    .sgpr_spill_count: 0
    .symbol:         _ZN9rocsparse29copy_farray_mix_safe_kernel_tIDF16_ivE3runILj1024EEEvmPDF16_PKiPi.kd
    .uniform_work_group_size: 1
    .uses_dynamic_stack: false
    .vgpr_count:     0
    .vgpr_spill_count: 0
    .wavefront_size: 32
    .workgroup_processor_mode: 1
  - .args:
      - .offset:         0
        .size:           8
        .value_kind:     by_value
      - .address_space:  global
        .offset:         8
        .size:           8
        .value_kind:     global_buffer
      - .address_space:  global
        .offset:         16
        .size:           8
        .value_kind:     global_buffer
      - .address_space:  global
        .offset:         24
        .size:           8
        .value_kind:     global_buffer
    .group_segment_fixed_size: 0
    .kernarg_segment_align: 8
    .kernarg_segment_size: 32
    .language:       OpenCL C
    .language_version:
      - 2
      - 0
    .max_flat_workgroup_size: 1024
    .name:           _ZN9rocsparse29copy_farray_mix_safe_kernel_tIDF16_jvE3runILj1024EEEvmPDF16_PKjPj
    .private_segment_fixed_size: 0
    .sgpr_count:     0
    .sgpr_spill_count: 0
    .symbol:         _ZN9rocsparse29copy_farray_mix_safe_kernel_tIDF16_jvE3runILj1024EEEvmPDF16_PKjPj.kd
    .uniform_work_group_size: 1
    .uses_dynamic_stack: false
    .vgpr_count:     0
    .vgpr_spill_count: 0
    .wavefront_size: 32
    .workgroup_processor_mode: 1
  - .args:
      - .offset:         0
        .size:           8
        .value_kind:     by_value
      - .address_space:  global
        .offset:         8
        .size:           8
        .value_kind:     global_buffer
      - .address_space:  global
        .offset:         16
        .size:           8
        .value_kind:     global_buffer
      - .address_space:  global
        .offset:         24
        .size:           8
        .value_kind:     global_buffer
    .group_segment_fixed_size: 0
    .kernarg_segment_align: 8
    .kernarg_segment_size: 32
    .language:       OpenCL C
    .language_version:
      - 2
      - 0
    .max_flat_workgroup_size: 1024
    .name:           _ZN9rocsparse29copy_farray_mix_safe_kernel_tIDF16_DF16_vE3runILj1024EEEvmPDF16_PKDF16_S3_
    .private_segment_fixed_size: 0
    .sgpr_count:     18
    .sgpr_spill_count: 0
    .symbol:         _ZN9rocsparse29copy_farray_mix_safe_kernel_tIDF16_DF16_vE3runILj1024EEEvmPDF16_PKDF16_S3_.kd
    .uniform_work_group_size: 1
    .uses_dynamic_stack: false
    .vgpr_count:     4
    .vgpr_spill_count: 0
    .wavefront_size: 32
    .workgroup_processor_mode: 1
  - .args:
      - .offset:         0
        .size:           8
        .value_kind:     by_value
      - .address_space:  global
        .offset:         8
        .size:           8
        .value_kind:     global_buffer
      - .address_space:  global
        .offset:         16
        .size:           8
        .value_kind:     global_buffer
      - .address_space:  global
        .offset:         24
        .size:           8
        .value_kind:     global_buffer
    .group_segment_fixed_size: 0
    .kernarg_segment_align: 8
    .kernarg_segment_size: 32
    .language:       OpenCL C
    .language_version:
      - 2
      - 0
    .max_flat_workgroup_size: 1024
    .name:           _ZN9rocsparse29copy_farray_mix_safe_kernel_tIDF16_18rocsparse_bfloat16vE3runILj1024EEEvmPDF16_PKS1_PS1_
    .private_segment_fixed_size: 0
    .sgpr_count:     0
    .sgpr_spill_count: 0
    .symbol:         _ZN9rocsparse29copy_farray_mix_safe_kernel_tIDF16_18rocsparse_bfloat16vE3runILj1024EEEvmPDF16_PKS1_PS1_.kd
    .uniform_work_group_size: 1
    .uses_dynamic_stack: false
    .vgpr_count:     0
    .vgpr_spill_count: 0
    .wavefront_size: 32
    .workgroup_processor_mode: 1
  - .args:
      - .offset:         0
        .size:           8
        .value_kind:     by_value
      - .address_space:  global
        .offset:         8
        .size:           8
        .value_kind:     global_buffer
      - .address_space:  global
        .offset:         16
        .size:           8
        .value_kind:     global_buffer
      - .address_space:  global
        .offset:         24
        .size:           8
        .value_kind:     global_buffer
    .group_segment_fixed_size: 0
    .kernarg_segment_align: 8
    .kernarg_segment_size: 32
    .language:       OpenCL C
    .language_version:
      - 2
      - 0
    .max_flat_workgroup_size: 1024
    .name:           _ZN9rocsparse29copy_farray_mix_safe_kernel_tIDF16_fvE3runILj1024EEEvmPDF16_PKfPf
    .private_segment_fixed_size: 0
    .sgpr_count:     0
    .sgpr_spill_count: 0
    .symbol:         _ZN9rocsparse29copy_farray_mix_safe_kernel_tIDF16_fvE3runILj1024EEEvmPDF16_PKfPf.kd
    .uniform_work_group_size: 1
    .uses_dynamic_stack: false
    .vgpr_count:     0
    .vgpr_spill_count: 0
    .wavefront_size: 32
    .workgroup_processor_mode: 1
  - .args:
      - .offset:         0
        .size:           8
        .value_kind:     by_value
      - .address_space:  global
        .offset:         8
        .size:           8
        .value_kind:     global_buffer
      - .address_space:  global
        .offset:         16
        .size:           8
        .value_kind:     global_buffer
      - .address_space:  global
        .offset:         24
        .size:           8
        .value_kind:     global_buffer
    .group_segment_fixed_size: 0
    .kernarg_segment_align: 8
    .kernarg_segment_size: 32
    .language:       OpenCL C
    .language_version:
      - 2
      - 0
    .max_flat_workgroup_size: 1024
    .name:           _ZN9rocsparse29copy_farray_mix_safe_kernel_tIDF16_dvE3runILj1024EEEvmPDF16_PKdPd
    .private_segment_fixed_size: 0
    .sgpr_count:     0
    .sgpr_spill_count: 0
    .symbol:         _ZN9rocsparse29copy_farray_mix_safe_kernel_tIDF16_dvE3runILj1024EEEvmPDF16_PKdPd.kd
    .uniform_work_group_size: 1
    .uses_dynamic_stack: false
    .vgpr_count:     0
    .vgpr_spill_count: 0
    .wavefront_size: 32
    .workgroup_processor_mode: 1
  - .args:
      - .offset:         0
        .size:           8
        .value_kind:     by_value
      - .address_space:  global
        .offset:         8
        .size:           8
        .value_kind:     global_buffer
      - .address_space:  global
        .offset:         16
        .size:           8
        .value_kind:     global_buffer
      - .address_space:  global
        .offset:         24
        .size:           8
        .value_kind:     global_buffer
    .group_segment_fixed_size: 0
    .kernarg_segment_align: 8
    .kernarg_segment_size: 32
    .language:       OpenCL C
    .language_version:
      - 2
      - 0
    .max_flat_workgroup_size: 1024
    .name:           _ZN9rocsparse29copy_farray_mix_safe_kernel_tIDF16_21rocsparse_complex_numIfEvE3runILj1024EEEvmPDF16_PKS2_Pf
    .private_segment_fixed_size: 0
    .sgpr_count:     0
    .sgpr_spill_count: 0
    .symbol:         _ZN9rocsparse29copy_farray_mix_safe_kernel_tIDF16_21rocsparse_complex_numIfEvE3runILj1024EEEvmPDF16_PKS2_Pf.kd
    .uniform_work_group_size: 1
    .uses_dynamic_stack: false
    .vgpr_count:     0
    .vgpr_spill_count: 0
    .wavefront_size: 32
    .workgroup_processor_mode: 1
  - .args:
      - .offset:         0
        .size:           8
        .value_kind:     by_value
      - .address_space:  global
        .offset:         8
        .size:           8
        .value_kind:     global_buffer
      - .address_space:  global
        .offset:         16
        .size:           8
        .value_kind:     global_buffer
      - .address_space:  global
        .offset:         24
        .size:           8
        .value_kind:     global_buffer
    .group_segment_fixed_size: 0
    .kernarg_segment_align: 8
    .kernarg_segment_size: 32
    .language:       OpenCL C
    .language_version:
      - 2
      - 0
    .max_flat_workgroup_size: 1024
    .name:           _ZN9rocsparse29copy_farray_mix_safe_kernel_tIDF16_21rocsparse_complex_numIdEvE3runILj1024EEEvmPDF16_PKS2_Pd
    .private_segment_fixed_size: 0
    .sgpr_count:     0
    .sgpr_spill_count: 0
    .symbol:         _ZN9rocsparse29copy_farray_mix_safe_kernel_tIDF16_21rocsparse_complex_numIdEvE3runILj1024EEEvmPDF16_PKS2_Pd.kd
    .uniform_work_group_size: 1
    .uses_dynamic_stack: false
    .vgpr_count:     0
    .vgpr_spill_count: 0
    .wavefront_size: 32
    .workgroup_processor_mode: 1
  - .args:
      - .offset:         0
        .size:           8
        .value_kind:     by_value
      - .address_space:  global
        .offset:         8
        .size:           8
        .value_kind:     global_buffer
      - .address_space:  global
        .offset:         16
        .size:           8
        .value_kind:     global_buffer
      - .address_space:  global
        .offset:         24
        .size:           8
        .value_kind:     global_buffer
    .group_segment_fixed_size: 0
    .kernarg_segment_align: 8
    .kernarg_segment_size: 32
    .language:       OpenCL C
    .language_version:
      - 2
      - 0
    .max_flat_workgroup_size: 1024
    .name:           _ZN9rocsparse29copy_farray_mix_safe_kernel_tI18rocsparse_bfloat16avE3runILj1024EEEvmPS1_PKaPa
    .private_segment_fixed_size: 0
    .sgpr_count:     0
    .sgpr_spill_count: 0
    .symbol:         _ZN9rocsparse29copy_farray_mix_safe_kernel_tI18rocsparse_bfloat16avE3runILj1024EEEvmPS1_PKaPa.kd
    .uniform_work_group_size: 1
    .uses_dynamic_stack: false
    .vgpr_count:     0
    .vgpr_spill_count: 0
    .wavefront_size: 32
    .workgroup_processor_mode: 1
  - .args:
      - .offset:         0
        .size:           8
        .value_kind:     by_value
      - .address_space:  global
        .offset:         8
        .size:           8
        .value_kind:     global_buffer
      - .address_space:  global
        .offset:         16
        .size:           8
        .value_kind:     global_buffer
      - .address_space:  global
        .offset:         24
        .size:           8
        .value_kind:     global_buffer
    .group_segment_fixed_size: 0
    .kernarg_segment_align: 8
    .kernarg_segment_size: 32
    .language:       OpenCL C
    .language_version:
      - 2
      - 0
    .max_flat_workgroup_size: 1024
    .name:           _ZN9rocsparse29copy_farray_mix_safe_kernel_tI18rocsparse_bfloat16hvE3runILj1024EEEvmPS1_PKhPh
    .private_segment_fixed_size: 0
    .sgpr_count:     0
    .sgpr_spill_count: 0
    .symbol:         _ZN9rocsparse29copy_farray_mix_safe_kernel_tI18rocsparse_bfloat16hvE3runILj1024EEEvmPS1_PKhPh.kd
    .uniform_work_group_size: 1
    .uses_dynamic_stack: false
    .vgpr_count:     0
    .vgpr_spill_count: 0
    .wavefront_size: 32
    .workgroup_processor_mode: 1
  - .args:
      - .offset:         0
        .size:           8
        .value_kind:     by_value
      - .address_space:  global
        .offset:         8
        .size:           8
        .value_kind:     global_buffer
      - .address_space:  global
        .offset:         16
        .size:           8
        .value_kind:     global_buffer
      - .address_space:  global
        .offset:         24
        .size:           8
        .value_kind:     global_buffer
    .group_segment_fixed_size: 0
    .kernarg_segment_align: 8
    .kernarg_segment_size: 32
    .language:       OpenCL C
    .language_version:
      - 2
      - 0
    .max_flat_workgroup_size: 1024
    .name:           _ZN9rocsparse29copy_farray_mix_safe_kernel_tI18rocsparse_bfloat16ivE3runILj1024EEEvmPS1_PKiPi
    .private_segment_fixed_size: 0
    .sgpr_count:     0
    .sgpr_spill_count: 0
    .symbol:         _ZN9rocsparse29copy_farray_mix_safe_kernel_tI18rocsparse_bfloat16ivE3runILj1024EEEvmPS1_PKiPi.kd
    .uniform_work_group_size: 1
    .uses_dynamic_stack: false
    .vgpr_count:     0
    .vgpr_spill_count: 0
    .wavefront_size: 32
    .workgroup_processor_mode: 1
  - .args:
      - .offset:         0
        .size:           8
        .value_kind:     by_value
      - .address_space:  global
        .offset:         8
        .size:           8
        .value_kind:     global_buffer
      - .address_space:  global
        .offset:         16
        .size:           8
        .value_kind:     global_buffer
      - .address_space:  global
        .offset:         24
        .size:           8
        .value_kind:     global_buffer
    .group_segment_fixed_size: 0
    .kernarg_segment_align: 8
    .kernarg_segment_size: 32
    .language:       OpenCL C
    .language_version:
      - 2
      - 0
    .max_flat_workgroup_size: 1024
    .name:           _ZN9rocsparse29copy_farray_mix_safe_kernel_tI18rocsparse_bfloat16jvE3runILj1024EEEvmPS1_PKjPj
    .private_segment_fixed_size: 0
    .sgpr_count:     0
    .sgpr_spill_count: 0
    .symbol:         _ZN9rocsparse29copy_farray_mix_safe_kernel_tI18rocsparse_bfloat16jvE3runILj1024EEEvmPS1_PKjPj.kd
    .uniform_work_group_size: 1
    .uses_dynamic_stack: false
    .vgpr_count:     0
    .vgpr_spill_count: 0
    .wavefront_size: 32
    .workgroup_processor_mode: 1
  - .args:
      - .offset:         0
        .size:           8
        .value_kind:     by_value
      - .address_space:  global
        .offset:         8
        .size:           8
        .value_kind:     global_buffer
      - .address_space:  global
        .offset:         16
        .size:           8
        .value_kind:     global_buffer
      - .address_space:  global
        .offset:         24
        .size:           8
        .value_kind:     global_buffer
    .group_segment_fixed_size: 0
    .kernarg_segment_align: 8
    .kernarg_segment_size: 32
    .language:       OpenCL C
    .language_version:
      - 2
      - 0
    .max_flat_workgroup_size: 1024
    .name:           _ZN9rocsparse29copy_farray_mix_safe_kernel_tI18rocsparse_bfloat16DF16_vE3runILj1024EEEvmPS1_PKDF16_PDF16_
    .private_segment_fixed_size: 0
    .sgpr_count:     0
    .sgpr_spill_count: 0
    .symbol:         _ZN9rocsparse29copy_farray_mix_safe_kernel_tI18rocsparse_bfloat16DF16_vE3runILj1024EEEvmPS1_PKDF16_PDF16_.kd
    .uniform_work_group_size: 1
    .uses_dynamic_stack: false
    .vgpr_count:     0
    .vgpr_spill_count: 0
    .wavefront_size: 32
    .workgroup_processor_mode: 1
  - .args:
      - .offset:         0
        .size:           8
        .value_kind:     by_value
      - .address_space:  global
        .offset:         8
        .size:           8
        .value_kind:     global_buffer
      - .address_space:  global
        .offset:         16
        .size:           8
        .value_kind:     global_buffer
      - .address_space:  global
        .offset:         24
        .size:           8
        .value_kind:     global_buffer
    .group_segment_fixed_size: 0
    .kernarg_segment_align: 8
    .kernarg_segment_size: 32
    .language:       OpenCL C
    .language_version:
      - 2
      - 0
    .max_flat_workgroup_size: 1024
    .name:           _ZN9rocsparse29copy_farray_mix_safe_kernel_tI18rocsparse_bfloat16S1_vE3runILj1024EEEvmPS1_PKS1_S4_
    .private_segment_fixed_size: 0
    .sgpr_count:     18
    .sgpr_spill_count: 0
    .symbol:         _ZN9rocsparse29copy_farray_mix_safe_kernel_tI18rocsparse_bfloat16S1_vE3runILj1024EEEvmPS1_PKS1_S4_.kd
    .uniform_work_group_size: 1
    .uses_dynamic_stack: false
    .vgpr_count:     4
    .vgpr_spill_count: 0
    .wavefront_size: 32
    .workgroup_processor_mode: 1
  - .args:
      - .offset:         0
        .size:           8
        .value_kind:     by_value
      - .address_space:  global
        .offset:         8
        .size:           8
        .value_kind:     global_buffer
      - .address_space:  global
        .offset:         16
        .size:           8
        .value_kind:     global_buffer
      - .address_space:  global
        .offset:         24
        .size:           8
        .value_kind:     global_buffer
    .group_segment_fixed_size: 0
    .kernarg_segment_align: 8
    .kernarg_segment_size: 32
    .language:       OpenCL C
    .language_version:
      - 2
      - 0
    .max_flat_workgroup_size: 1024
    .name:           _ZN9rocsparse29copy_farray_mix_safe_kernel_tI18rocsparse_bfloat16fvE3runILj1024EEEvmPS1_PKfPf
    .private_segment_fixed_size: 0
    .sgpr_count:     0
    .sgpr_spill_count: 0
    .symbol:         _ZN9rocsparse29copy_farray_mix_safe_kernel_tI18rocsparse_bfloat16fvE3runILj1024EEEvmPS1_PKfPf.kd
    .uniform_work_group_size: 1
    .uses_dynamic_stack: false
    .vgpr_count:     0
    .vgpr_spill_count: 0
    .wavefront_size: 32
    .workgroup_processor_mode: 1
  - .args:
      - .offset:         0
        .size:           8
        .value_kind:     by_value
      - .address_space:  global
        .offset:         8
        .size:           8
        .value_kind:     global_buffer
      - .address_space:  global
        .offset:         16
        .size:           8
        .value_kind:     global_buffer
      - .address_space:  global
        .offset:         24
        .size:           8
        .value_kind:     global_buffer
    .group_segment_fixed_size: 0
    .kernarg_segment_align: 8
    .kernarg_segment_size: 32
    .language:       OpenCL C
    .language_version:
      - 2
      - 0
    .max_flat_workgroup_size: 1024
    .name:           _ZN9rocsparse29copy_farray_mix_safe_kernel_tI18rocsparse_bfloat16dvE3runILj1024EEEvmPS1_PKdPd
    .private_segment_fixed_size: 0
    .sgpr_count:     0
    .sgpr_spill_count: 0
    .symbol:         _ZN9rocsparse29copy_farray_mix_safe_kernel_tI18rocsparse_bfloat16dvE3runILj1024EEEvmPS1_PKdPd.kd
    .uniform_work_group_size: 1
    .uses_dynamic_stack: false
    .vgpr_count:     0
    .vgpr_spill_count: 0
    .wavefront_size: 32
    .workgroup_processor_mode: 1
  - .args:
      - .offset:         0
        .size:           8
        .value_kind:     by_value
      - .address_space:  global
        .offset:         8
        .size:           8
        .value_kind:     global_buffer
      - .address_space:  global
        .offset:         16
        .size:           8
        .value_kind:     global_buffer
      - .address_space:  global
        .offset:         24
        .size:           8
        .value_kind:     global_buffer
    .group_segment_fixed_size: 0
    .kernarg_segment_align: 8
    .kernarg_segment_size: 32
    .language:       OpenCL C
    .language_version:
      - 2
      - 0
    .max_flat_workgroup_size: 1024
    .name:           _ZN9rocsparse29copy_farray_mix_safe_kernel_tI18rocsparse_bfloat1621rocsparse_complex_numIfEvE3runILj1024EEEvmPS1_PKS3_Pf
    .private_segment_fixed_size: 0
    .sgpr_count:     0
    .sgpr_spill_count: 0
    .symbol:         _ZN9rocsparse29copy_farray_mix_safe_kernel_tI18rocsparse_bfloat1621rocsparse_complex_numIfEvE3runILj1024EEEvmPS1_PKS3_Pf.kd
    .uniform_work_group_size: 1
    .uses_dynamic_stack: false
    .vgpr_count:     0
    .vgpr_spill_count: 0
    .wavefront_size: 32
    .workgroup_processor_mode: 1
  - .args:
      - .offset:         0
        .size:           8
        .value_kind:     by_value
      - .address_space:  global
        .offset:         8
        .size:           8
        .value_kind:     global_buffer
      - .address_space:  global
        .offset:         16
        .size:           8
        .value_kind:     global_buffer
      - .address_space:  global
        .offset:         24
        .size:           8
        .value_kind:     global_buffer
    .group_segment_fixed_size: 0
    .kernarg_segment_align: 8
    .kernarg_segment_size: 32
    .language:       OpenCL C
    .language_version:
      - 2
      - 0
    .max_flat_workgroup_size: 1024
    .name:           _ZN9rocsparse29copy_farray_mix_safe_kernel_tI18rocsparse_bfloat1621rocsparse_complex_numIdEvE3runILj1024EEEvmPS1_PKS3_Pd
    .private_segment_fixed_size: 0
    .sgpr_count:     0
    .sgpr_spill_count: 0
    .symbol:         _ZN9rocsparse29copy_farray_mix_safe_kernel_tI18rocsparse_bfloat1621rocsparse_complex_numIdEvE3runILj1024EEEvmPS1_PKS3_Pd.kd
    .uniform_work_group_size: 1
    .uses_dynamic_stack: false
    .vgpr_count:     0
    .vgpr_spill_count: 0
    .wavefront_size: 32
    .workgroup_processor_mode: 1
  - .args:
      - .offset:         0
        .size:           8
        .value_kind:     by_value
      - .address_space:  global
        .offset:         8
        .size:           8
        .value_kind:     global_buffer
      - .address_space:  global
        .offset:         16
        .size:           8
        .value_kind:     global_buffer
      - .address_space:  global
        .offset:         24
        .size:           8
        .value_kind:     global_buffer
    .group_segment_fixed_size: 0
    .kernarg_segment_align: 8
    .kernarg_segment_size: 32
    .language:       OpenCL C
    .language_version:
      - 2
      - 0
    .max_flat_workgroup_size: 1024
    .name:           _ZN9rocsparse29copy_farray_mix_safe_kernel_tIfavE3runILj1024EEEvmPfPKaPa
    .private_segment_fixed_size: 0
    .sgpr_count:     0
    .sgpr_spill_count: 0
    .symbol:         _ZN9rocsparse29copy_farray_mix_safe_kernel_tIfavE3runILj1024EEEvmPfPKaPa.kd
    .uniform_work_group_size: 1
    .uses_dynamic_stack: false
    .vgpr_count:     0
    .vgpr_spill_count: 0
    .wavefront_size: 32
    .workgroup_processor_mode: 1
  - .args:
      - .offset:         0
        .size:           8
        .value_kind:     by_value
      - .address_space:  global
        .offset:         8
        .size:           8
        .value_kind:     global_buffer
      - .address_space:  global
        .offset:         16
        .size:           8
        .value_kind:     global_buffer
      - .address_space:  global
        .offset:         24
        .size:           8
        .value_kind:     global_buffer
    .group_segment_fixed_size: 0
    .kernarg_segment_align: 8
    .kernarg_segment_size: 32
    .language:       OpenCL C
    .language_version:
      - 2
      - 0
    .max_flat_workgroup_size: 1024
    .name:           _ZN9rocsparse29copy_farray_mix_safe_kernel_tIfhvE3runILj1024EEEvmPfPKhPh
    .private_segment_fixed_size: 0
    .sgpr_count:     0
    .sgpr_spill_count: 0
    .symbol:         _ZN9rocsparse29copy_farray_mix_safe_kernel_tIfhvE3runILj1024EEEvmPfPKhPh.kd
    .uniform_work_group_size: 1
    .uses_dynamic_stack: false
    .vgpr_count:     0
    .vgpr_spill_count: 0
    .wavefront_size: 32
    .workgroup_processor_mode: 1
  - .args:
      - .offset:         0
        .size:           8
        .value_kind:     by_value
      - .address_space:  global
        .offset:         8
        .size:           8
        .value_kind:     global_buffer
      - .address_space:  global
        .offset:         16
        .size:           8
        .value_kind:     global_buffer
      - .address_space:  global
        .offset:         24
        .size:           8
        .value_kind:     global_buffer
    .group_segment_fixed_size: 0
    .kernarg_segment_align: 8
    .kernarg_segment_size: 32
    .language:       OpenCL C
    .language_version:
      - 2
      - 0
    .max_flat_workgroup_size: 1024
    .name:           _ZN9rocsparse29copy_farray_mix_safe_kernel_tIfivE3runILj1024EEEvmPfPKiPi
    .private_segment_fixed_size: 0
    .sgpr_count:     0
    .sgpr_spill_count: 0
    .symbol:         _ZN9rocsparse29copy_farray_mix_safe_kernel_tIfivE3runILj1024EEEvmPfPKiPi.kd
    .uniform_work_group_size: 1
    .uses_dynamic_stack: false
    .vgpr_count:     0
    .vgpr_spill_count: 0
    .wavefront_size: 32
    .workgroup_processor_mode: 1
  - .args:
      - .offset:         0
        .size:           8
        .value_kind:     by_value
      - .address_space:  global
        .offset:         8
        .size:           8
        .value_kind:     global_buffer
      - .address_space:  global
        .offset:         16
        .size:           8
        .value_kind:     global_buffer
      - .address_space:  global
        .offset:         24
        .size:           8
        .value_kind:     global_buffer
    .group_segment_fixed_size: 0
    .kernarg_segment_align: 8
    .kernarg_segment_size: 32
    .language:       OpenCL C
    .language_version:
      - 2
      - 0
    .max_flat_workgroup_size: 1024
    .name:           _ZN9rocsparse29copy_farray_mix_safe_kernel_tIfjvE3runILj1024EEEvmPfPKjPj
    .private_segment_fixed_size: 0
    .sgpr_count:     0
    .sgpr_spill_count: 0
    .symbol:         _ZN9rocsparse29copy_farray_mix_safe_kernel_tIfjvE3runILj1024EEEvmPfPKjPj.kd
    .uniform_work_group_size: 1
    .uses_dynamic_stack: false
    .vgpr_count:     0
    .vgpr_spill_count: 0
    .wavefront_size: 32
    .workgroup_processor_mode: 1
  - .args:
      - .offset:         0
        .size:           8
        .value_kind:     by_value
      - .address_space:  global
        .offset:         8
        .size:           8
        .value_kind:     global_buffer
      - .address_space:  global
        .offset:         16
        .size:           8
        .value_kind:     global_buffer
      - .address_space:  global
        .offset:         24
        .size:           8
        .value_kind:     global_buffer
    .group_segment_fixed_size: 0
    .kernarg_segment_align: 8
    .kernarg_segment_size: 32
    .language:       OpenCL C
    .language_version:
      - 2
      - 0
    .max_flat_workgroup_size: 1024
    .name:           _ZN9rocsparse29copy_farray_mix_safe_kernel_tIfDF16_vE3runILj1024EEEvmPfPKDF16_PDF16_
    .private_segment_fixed_size: 0
    .sgpr_count:     0
    .sgpr_spill_count: 0
    .symbol:         _ZN9rocsparse29copy_farray_mix_safe_kernel_tIfDF16_vE3runILj1024EEEvmPfPKDF16_PDF16_.kd
    .uniform_work_group_size: 1
    .uses_dynamic_stack: false
    .vgpr_count:     0
    .vgpr_spill_count: 0
    .wavefront_size: 32
    .workgroup_processor_mode: 1
  - .args:
      - .offset:         0
        .size:           8
        .value_kind:     by_value
      - .address_space:  global
        .offset:         8
        .size:           8
        .value_kind:     global_buffer
      - .address_space:  global
        .offset:         16
        .size:           8
        .value_kind:     global_buffer
      - .address_space:  global
        .offset:         24
        .size:           8
        .value_kind:     global_buffer
    .group_segment_fixed_size: 0
    .kernarg_segment_align: 8
    .kernarg_segment_size: 32
    .language:       OpenCL C
    .language_version:
      - 2
      - 0
    .max_flat_workgroup_size: 1024
    .name:           _ZN9rocsparse29copy_farray_mix_safe_kernel_tIf18rocsparse_bfloat16vE3runILj1024EEEvmPfPKS1_PS1_
    .private_segment_fixed_size: 0
    .sgpr_count:     0
    .sgpr_spill_count: 0
    .symbol:         _ZN9rocsparse29copy_farray_mix_safe_kernel_tIf18rocsparse_bfloat16vE3runILj1024EEEvmPfPKS1_PS1_.kd
    .uniform_work_group_size: 1
    .uses_dynamic_stack: false
    .vgpr_count:     0
    .vgpr_spill_count: 0
    .wavefront_size: 32
    .workgroup_processor_mode: 1
  - .args:
      - .offset:         0
        .size:           8
        .value_kind:     by_value
      - .address_space:  global
        .offset:         8
        .size:           8
        .value_kind:     global_buffer
      - .address_space:  global
        .offset:         16
        .size:           8
        .value_kind:     global_buffer
      - .address_space:  global
        .offset:         24
        .size:           8
        .value_kind:     global_buffer
    .group_segment_fixed_size: 0
    .kernarg_segment_align: 8
    .kernarg_segment_size: 32
    .language:       OpenCL C
    .language_version:
      - 2
      - 0
    .max_flat_workgroup_size: 1024
    .name:           _ZN9rocsparse29copy_farray_mix_safe_kernel_tIffvE3runILj1024EEEvmPfPKfS3_
    .private_segment_fixed_size: 0
    .sgpr_count:     18
    .sgpr_spill_count: 0
    .symbol:         _ZN9rocsparse29copy_farray_mix_safe_kernel_tIffvE3runILj1024EEEvmPfPKfS3_.kd
    .uniform_work_group_size: 1
    .uses_dynamic_stack: false
    .vgpr_count:     4
    .vgpr_spill_count: 0
    .wavefront_size: 32
    .workgroup_processor_mode: 1
  - .args:
      - .offset:         0
        .size:           8
        .value_kind:     by_value
      - .address_space:  global
        .offset:         8
        .size:           8
        .value_kind:     global_buffer
      - .address_space:  global
        .offset:         16
        .size:           8
        .value_kind:     global_buffer
      - .address_space:  global
        .offset:         24
        .size:           8
        .value_kind:     global_buffer
    .group_segment_fixed_size: 8192
    .kernarg_segment_align: 8
    .kernarg_segment_size: 32
    .language:       OpenCL C
    .language_version:
      - 2
      - 0
    .max_flat_workgroup_size: 1024
    .name:           _ZN9rocsparse29copy_farray_mix_safe_kernel_tIfdvE3runILj1024EEEvmPfPKdPd
    .private_segment_fixed_size: 0
    .sgpr_count:     18
    .sgpr_spill_count: 0
    .symbol:         _ZN9rocsparse29copy_farray_mix_safe_kernel_tIfdvE3runILj1024EEEvmPfPKdPd.kd
    .uniform_work_group_size: 1
    .uses_dynamic_stack: false
    .vgpr_count:     9
    .vgpr_spill_count: 0
    .wavefront_size: 32
    .workgroup_processor_mode: 1
  - .args:
      - .offset:         0
        .size:           8
        .value_kind:     by_value
      - .address_space:  global
        .offset:         8
        .size:           8
        .value_kind:     global_buffer
      - .address_space:  global
        .offset:         16
        .size:           8
        .value_kind:     global_buffer
      - .address_space:  global
        .offset:         24
        .size:           8
        .value_kind:     global_buffer
    .group_segment_fixed_size: 0
    .kernarg_segment_align: 8
    .kernarg_segment_size: 32
    .language:       OpenCL C
    .language_version:
      - 2
      - 0
    .max_flat_workgroup_size: 1024
    .name:           _ZN9rocsparse29copy_farray_mix_safe_kernel_tIf21rocsparse_complex_numIfEvE3runILj1024EEEvmPfPKS2_S5_
    .private_segment_fixed_size: 0
    .sgpr_count:     0
    .sgpr_spill_count: 0
    .symbol:         _ZN9rocsparse29copy_farray_mix_safe_kernel_tIf21rocsparse_complex_numIfEvE3runILj1024EEEvmPfPKS2_S5_.kd
    .uniform_work_group_size: 1
    .uses_dynamic_stack: false
    .vgpr_count:     0
    .vgpr_spill_count: 0
    .wavefront_size: 32
    .workgroup_processor_mode: 1
  - .args:
      - .offset:         0
        .size:           8
        .value_kind:     by_value
      - .address_space:  global
        .offset:         8
        .size:           8
        .value_kind:     global_buffer
      - .address_space:  global
        .offset:         16
        .size:           8
        .value_kind:     global_buffer
      - .address_space:  global
        .offset:         24
        .size:           8
        .value_kind:     global_buffer
    .group_segment_fixed_size: 0
    .kernarg_segment_align: 8
    .kernarg_segment_size: 32
    .language:       OpenCL C
    .language_version:
      - 2
      - 0
    .max_flat_workgroup_size: 1024
    .name:           _ZN9rocsparse29copy_farray_mix_safe_kernel_tIf21rocsparse_complex_numIdEvE3runILj1024EEEvmPfPKS2_Pd
    .private_segment_fixed_size: 0
    .sgpr_count:     0
    .sgpr_spill_count: 0
    .symbol:         _ZN9rocsparse29copy_farray_mix_safe_kernel_tIf21rocsparse_complex_numIdEvE3runILj1024EEEvmPfPKS2_Pd.kd
    .uniform_work_group_size: 1
    .uses_dynamic_stack: false
    .vgpr_count:     0
    .vgpr_spill_count: 0
    .wavefront_size: 32
    .workgroup_processor_mode: 1
  - .args:
      - .offset:         0
        .size:           8
        .value_kind:     by_value
      - .address_space:  global
        .offset:         8
        .size:           8
        .value_kind:     global_buffer
      - .address_space:  global
        .offset:         16
        .size:           8
        .value_kind:     global_buffer
      - .address_space:  global
        .offset:         24
        .size:           8
        .value_kind:     global_buffer
    .group_segment_fixed_size: 0
    .kernarg_segment_align: 8
    .kernarg_segment_size: 32
    .language:       OpenCL C
    .language_version:
      - 2
      - 0
    .max_flat_workgroup_size: 1024
    .name:           _ZN9rocsparse29copy_farray_mix_safe_kernel_tIdavE3runILj1024EEEvmPdPKaPa
    .private_segment_fixed_size: 0
    .sgpr_count:     0
    .sgpr_spill_count: 0
    .symbol:         _ZN9rocsparse29copy_farray_mix_safe_kernel_tIdavE3runILj1024EEEvmPdPKaPa.kd
    .uniform_work_group_size: 1
    .uses_dynamic_stack: false
    .vgpr_count:     0
    .vgpr_spill_count: 0
    .wavefront_size: 32
    .workgroup_processor_mode: 1
  - .args:
      - .offset:         0
        .size:           8
        .value_kind:     by_value
      - .address_space:  global
        .offset:         8
        .size:           8
        .value_kind:     global_buffer
      - .address_space:  global
        .offset:         16
        .size:           8
        .value_kind:     global_buffer
      - .address_space:  global
        .offset:         24
        .size:           8
        .value_kind:     global_buffer
    .group_segment_fixed_size: 0
    .kernarg_segment_align: 8
    .kernarg_segment_size: 32
    .language:       OpenCL C
    .language_version:
      - 2
      - 0
    .max_flat_workgroup_size: 1024
    .name:           _ZN9rocsparse29copy_farray_mix_safe_kernel_tIdhvE3runILj1024EEEvmPdPKhPh
    .private_segment_fixed_size: 0
    .sgpr_count:     0
    .sgpr_spill_count: 0
    .symbol:         _ZN9rocsparse29copy_farray_mix_safe_kernel_tIdhvE3runILj1024EEEvmPdPKhPh.kd
    .uniform_work_group_size: 1
    .uses_dynamic_stack: false
    .vgpr_count:     0
    .vgpr_spill_count: 0
    .wavefront_size: 32
    .workgroup_processor_mode: 1
  - .args:
      - .offset:         0
        .size:           8
        .value_kind:     by_value
      - .address_space:  global
        .offset:         8
        .size:           8
        .value_kind:     global_buffer
      - .address_space:  global
        .offset:         16
        .size:           8
        .value_kind:     global_buffer
      - .address_space:  global
        .offset:         24
        .size:           8
        .value_kind:     global_buffer
    .group_segment_fixed_size: 0
    .kernarg_segment_align: 8
    .kernarg_segment_size: 32
    .language:       OpenCL C
    .language_version:
      - 2
      - 0
    .max_flat_workgroup_size: 1024
    .name:           _ZN9rocsparse29copy_farray_mix_safe_kernel_tIdivE3runILj1024EEEvmPdPKiPi
    .private_segment_fixed_size: 0
    .sgpr_count:     0
    .sgpr_spill_count: 0
    .symbol:         _ZN9rocsparse29copy_farray_mix_safe_kernel_tIdivE3runILj1024EEEvmPdPKiPi.kd
    .uniform_work_group_size: 1
    .uses_dynamic_stack: false
    .vgpr_count:     0
    .vgpr_spill_count: 0
    .wavefront_size: 32
    .workgroup_processor_mode: 1
  - .args:
      - .offset:         0
        .size:           8
        .value_kind:     by_value
      - .address_space:  global
        .offset:         8
        .size:           8
        .value_kind:     global_buffer
      - .address_space:  global
        .offset:         16
        .size:           8
        .value_kind:     global_buffer
      - .address_space:  global
        .offset:         24
        .size:           8
        .value_kind:     global_buffer
    .group_segment_fixed_size: 0
    .kernarg_segment_align: 8
    .kernarg_segment_size: 32
    .language:       OpenCL C
    .language_version:
      - 2
      - 0
    .max_flat_workgroup_size: 1024
    .name:           _ZN9rocsparse29copy_farray_mix_safe_kernel_tIdjvE3runILj1024EEEvmPdPKjPj
    .private_segment_fixed_size: 0
    .sgpr_count:     0
    .sgpr_spill_count: 0
    .symbol:         _ZN9rocsparse29copy_farray_mix_safe_kernel_tIdjvE3runILj1024EEEvmPdPKjPj.kd
    .uniform_work_group_size: 1
    .uses_dynamic_stack: false
    .vgpr_count:     0
    .vgpr_spill_count: 0
    .wavefront_size: 32
    .workgroup_processor_mode: 1
  - .args:
      - .offset:         0
        .size:           8
        .value_kind:     by_value
      - .address_space:  global
        .offset:         8
        .size:           8
        .value_kind:     global_buffer
      - .address_space:  global
        .offset:         16
        .size:           8
        .value_kind:     global_buffer
      - .address_space:  global
        .offset:         24
        .size:           8
        .value_kind:     global_buffer
    .group_segment_fixed_size: 0
    .kernarg_segment_align: 8
    .kernarg_segment_size: 32
    .language:       OpenCL C
    .language_version:
      - 2
      - 0
    .max_flat_workgroup_size: 1024
    .name:           _ZN9rocsparse29copy_farray_mix_safe_kernel_tIdDF16_vE3runILj1024EEEvmPdPKDF16_PDF16_
    .private_segment_fixed_size: 0
    .sgpr_count:     0
    .sgpr_spill_count: 0
    .symbol:         _ZN9rocsparse29copy_farray_mix_safe_kernel_tIdDF16_vE3runILj1024EEEvmPdPKDF16_PDF16_.kd
    .uniform_work_group_size: 1
    .uses_dynamic_stack: false
    .vgpr_count:     0
    .vgpr_spill_count: 0
    .wavefront_size: 32
    .workgroup_processor_mode: 1
  - .args:
      - .offset:         0
        .size:           8
        .value_kind:     by_value
      - .address_space:  global
        .offset:         8
        .size:           8
        .value_kind:     global_buffer
      - .address_space:  global
        .offset:         16
        .size:           8
        .value_kind:     global_buffer
      - .address_space:  global
        .offset:         24
        .size:           8
        .value_kind:     global_buffer
    .group_segment_fixed_size: 0
    .kernarg_segment_align: 8
    .kernarg_segment_size: 32
    .language:       OpenCL C
    .language_version:
      - 2
      - 0
    .max_flat_workgroup_size: 1024
    .name:           _ZN9rocsparse29copy_farray_mix_safe_kernel_tId18rocsparse_bfloat16vE3runILj1024EEEvmPdPKS1_PS1_
    .private_segment_fixed_size: 0
    .sgpr_count:     0
    .sgpr_spill_count: 0
    .symbol:         _ZN9rocsparse29copy_farray_mix_safe_kernel_tId18rocsparse_bfloat16vE3runILj1024EEEvmPdPKS1_PS1_.kd
    .uniform_work_group_size: 1
    .uses_dynamic_stack: false
    .vgpr_count:     0
    .vgpr_spill_count: 0
    .wavefront_size: 32
    .workgroup_processor_mode: 1
  - .args:
      - .offset:         0
        .size:           8
        .value_kind:     by_value
      - .address_space:  global
        .offset:         8
        .size:           8
        .value_kind:     global_buffer
      - .address_space:  global
        .offset:         16
        .size:           8
        .value_kind:     global_buffer
      - .address_space:  global
        .offset:         24
        .size:           8
        .value_kind:     global_buffer
    .group_segment_fixed_size: 0
    .kernarg_segment_align: 8
    .kernarg_segment_size: 32
    .language:       OpenCL C
    .language_version:
      - 2
      - 0
    .max_flat_workgroup_size: 1024
    .name:           _ZN9rocsparse29copy_farray_mix_safe_kernel_tIdfvE3runILj1024EEEvmPdPKfPf
    .private_segment_fixed_size: 0
    .sgpr_count:     18
    .sgpr_spill_count: 0
    .symbol:         _ZN9rocsparse29copy_farray_mix_safe_kernel_tIdfvE3runILj1024EEEvmPdPKfPf.kd
    .uniform_work_group_size: 1
    .uses_dynamic_stack: false
    .vgpr_count:     4
    .vgpr_spill_count: 0
    .wavefront_size: 32
    .workgroup_processor_mode: 1
  - .args:
      - .offset:         0
        .size:           8
        .value_kind:     by_value
      - .address_space:  global
        .offset:         8
        .size:           8
        .value_kind:     global_buffer
      - .address_space:  global
        .offset:         16
        .size:           8
        .value_kind:     global_buffer
      - .address_space:  global
        .offset:         24
        .size:           8
        .value_kind:     global_buffer
    .group_segment_fixed_size: 0
    .kernarg_segment_align: 8
    .kernarg_segment_size: 32
    .language:       OpenCL C
    .language_version:
      - 2
      - 0
    .max_flat_workgroup_size: 1024
    .name:           _ZN9rocsparse29copy_farray_mix_safe_kernel_tIddvE3runILj1024EEEvmPdPKdS3_
    .private_segment_fixed_size: 0
    .sgpr_count:     18
    .sgpr_spill_count: 0
    .symbol:         _ZN9rocsparse29copy_farray_mix_safe_kernel_tIddvE3runILj1024EEEvmPdPKdS3_.kd
    .uniform_work_group_size: 1
    .uses_dynamic_stack: false
    .vgpr_count:     4
    .vgpr_spill_count: 0
    .wavefront_size: 32
    .workgroup_processor_mode: 1
  - .args:
      - .offset:         0
        .size:           8
        .value_kind:     by_value
      - .address_space:  global
        .offset:         8
        .size:           8
        .value_kind:     global_buffer
      - .address_space:  global
        .offset:         16
        .size:           8
        .value_kind:     global_buffer
      - .address_space:  global
        .offset:         24
        .size:           8
        .value_kind:     global_buffer
    .group_segment_fixed_size: 0
    .kernarg_segment_align: 8
    .kernarg_segment_size: 32
    .language:       OpenCL C
    .language_version:
      - 2
      - 0
    .max_flat_workgroup_size: 1024
    .name:           _ZN9rocsparse29copy_farray_mix_safe_kernel_tId21rocsparse_complex_numIfEvE3runILj1024EEEvmPdPKS2_Pf
    .private_segment_fixed_size: 0
    .sgpr_count:     0
    .sgpr_spill_count: 0
    .symbol:         _ZN9rocsparse29copy_farray_mix_safe_kernel_tId21rocsparse_complex_numIfEvE3runILj1024EEEvmPdPKS2_Pf.kd
    .uniform_work_group_size: 1
    .uses_dynamic_stack: false
    .vgpr_count:     0
    .vgpr_spill_count: 0
    .wavefront_size: 32
    .workgroup_processor_mode: 1
  - .args:
      - .offset:         0
        .size:           8
        .value_kind:     by_value
      - .address_space:  global
        .offset:         8
        .size:           8
        .value_kind:     global_buffer
      - .address_space:  global
        .offset:         16
        .size:           8
        .value_kind:     global_buffer
      - .address_space:  global
        .offset:         24
        .size:           8
        .value_kind:     global_buffer
    .group_segment_fixed_size: 0
    .kernarg_segment_align: 8
    .kernarg_segment_size: 32
    .language:       OpenCL C
    .language_version:
      - 2
      - 0
    .max_flat_workgroup_size: 1024
    .name:           _ZN9rocsparse29copy_farray_mix_safe_kernel_tId21rocsparse_complex_numIdEvE3runILj1024EEEvmPdPKS2_S5_
    .private_segment_fixed_size: 0
    .sgpr_count:     0
    .sgpr_spill_count: 0
    .symbol:         _ZN9rocsparse29copy_farray_mix_safe_kernel_tId21rocsparse_complex_numIdEvE3runILj1024EEEvmPdPKS2_S5_.kd
    .uniform_work_group_size: 1
    .uses_dynamic_stack: false
    .vgpr_count:     0
    .vgpr_spill_count: 0
    .wavefront_size: 32
    .workgroup_processor_mode: 1
  - .args:
      - .offset:         0
        .size:           8
        .value_kind:     by_value
      - .address_space:  global
        .offset:         8
        .size:           8
        .value_kind:     global_buffer
      - .address_space:  global
        .offset:         16
        .size:           8
        .value_kind:     global_buffer
      - .address_space:  global
        .offset:         24
        .size:           8
        .value_kind:     global_buffer
    .group_segment_fixed_size: 0
    .kernarg_segment_align: 8
    .kernarg_segment_size: 32
    .language:       OpenCL C
    .language_version:
      - 2
      - 0
    .max_flat_workgroup_size: 1024
    .name:           _ZN9rocsparse29copy_farray_mix_safe_kernel_tI21rocsparse_complex_numIfEavE3runILj1024EEEvmPS2_PKaPa
    .private_segment_fixed_size: 0
    .sgpr_count:     0
    .sgpr_spill_count: 0
    .symbol:         _ZN9rocsparse29copy_farray_mix_safe_kernel_tI21rocsparse_complex_numIfEavE3runILj1024EEEvmPS2_PKaPa.kd
    .uniform_work_group_size: 1
    .uses_dynamic_stack: false
    .vgpr_count:     0
    .vgpr_spill_count: 0
    .wavefront_size: 32
    .workgroup_processor_mode: 1
  - .args:
      - .offset:         0
        .size:           8
        .value_kind:     by_value
      - .address_space:  global
        .offset:         8
        .size:           8
        .value_kind:     global_buffer
      - .address_space:  global
        .offset:         16
        .size:           8
        .value_kind:     global_buffer
      - .address_space:  global
        .offset:         24
        .size:           8
        .value_kind:     global_buffer
    .group_segment_fixed_size: 0
    .kernarg_segment_align: 8
    .kernarg_segment_size: 32
    .language:       OpenCL C
    .language_version:
      - 2
      - 0
    .max_flat_workgroup_size: 1024
    .name:           _ZN9rocsparse29copy_farray_mix_safe_kernel_tI21rocsparse_complex_numIfEhvE3runILj1024EEEvmPS2_PKhPh
    .private_segment_fixed_size: 0
    .sgpr_count:     0
    .sgpr_spill_count: 0
    .symbol:         _ZN9rocsparse29copy_farray_mix_safe_kernel_tI21rocsparse_complex_numIfEhvE3runILj1024EEEvmPS2_PKhPh.kd
    .uniform_work_group_size: 1
    .uses_dynamic_stack: false
    .vgpr_count:     0
    .vgpr_spill_count: 0
    .wavefront_size: 32
    .workgroup_processor_mode: 1
  - .args:
      - .offset:         0
        .size:           8
        .value_kind:     by_value
      - .address_space:  global
        .offset:         8
        .size:           8
        .value_kind:     global_buffer
      - .address_space:  global
        .offset:         16
        .size:           8
        .value_kind:     global_buffer
      - .address_space:  global
        .offset:         24
        .size:           8
        .value_kind:     global_buffer
    .group_segment_fixed_size: 0
    .kernarg_segment_align: 8
    .kernarg_segment_size: 32
    .language:       OpenCL C
    .language_version:
      - 2
      - 0
    .max_flat_workgroup_size: 1024
    .name:           _ZN9rocsparse29copy_farray_mix_safe_kernel_tI21rocsparse_complex_numIfEivE3runILj1024EEEvmPS2_PKiPi
    .private_segment_fixed_size: 0
    .sgpr_count:     0
    .sgpr_spill_count: 0
    .symbol:         _ZN9rocsparse29copy_farray_mix_safe_kernel_tI21rocsparse_complex_numIfEivE3runILj1024EEEvmPS2_PKiPi.kd
    .uniform_work_group_size: 1
    .uses_dynamic_stack: false
    .vgpr_count:     0
    .vgpr_spill_count: 0
    .wavefront_size: 32
    .workgroup_processor_mode: 1
  - .args:
      - .offset:         0
        .size:           8
        .value_kind:     by_value
      - .address_space:  global
        .offset:         8
        .size:           8
        .value_kind:     global_buffer
      - .address_space:  global
        .offset:         16
        .size:           8
        .value_kind:     global_buffer
      - .address_space:  global
        .offset:         24
        .size:           8
        .value_kind:     global_buffer
    .group_segment_fixed_size: 0
    .kernarg_segment_align: 8
    .kernarg_segment_size: 32
    .language:       OpenCL C
    .language_version:
      - 2
      - 0
    .max_flat_workgroup_size: 1024
    .name:           _ZN9rocsparse29copy_farray_mix_safe_kernel_tI21rocsparse_complex_numIfEjvE3runILj1024EEEvmPS2_PKjPj
    .private_segment_fixed_size: 0
    .sgpr_count:     0
    .sgpr_spill_count: 0
    .symbol:         _ZN9rocsparse29copy_farray_mix_safe_kernel_tI21rocsparse_complex_numIfEjvE3runILj1024EEEvmPS2_PKjPj.kd
    .uniform_work_group_size: 1
    .uses_dynamic_stack: false
    .vgpr_count:     0
    .vgpr_spill_count: 0
    .wavefront_size: 32
    .workgroup_processor_mode: 1
  - .args:
      - .offset:         0
        .size:           8
        .value_kind:     by_value
      - .address_space:  global
        .offset:         8
        .size:           8
        .value_kind:     global_buffer
      - .address_space:  global
        .offset:         16
        .size:           8
        .value_kind:     global_buffer
      - .address_space:  global
        .offset:         24
        .size:           8
        .value_kind:     global_buffer
    .group_segment_fixed_size: 0
    .kernarg_segment_align: 8
    .kernarg_segment_size: 32
    .language:       OpenCL C
    .language_version:
      - 2
      - 0
    .max_flat_workgroup_size: 1024
    .name:           _ZN9rocsparse29copy_farray_mix_safe_kernel_tI21rocsparse_complex_numIfEDF16_vE3runILj1024EEEvmPS2_PKDF16_PDF16_
    .private_segment_fixed_size: 0
    .sgpr_count:     0
    .sgpr_spill_count: 0
    .symbol:         _ZN9rocsparse29copy_farray_mix_safe_kernel_tI21rocsparse_complex_numIfEDF16_vE3runILj1024EEEvmPS2_PKDF16_PDF16_.kd
    .uniform_work_group_size: 1
    .uses_dynamic_stack: false
    .vgpr_count:     0
    .vgpr_spill_count: 0
    .wavefront_size: 32
    .workgroup_processor_mode: 1
  - .args:
      - .offset:         0
        .size:           8
        .value_kind:     by_value
      - .address_space:  global
        .offset:         8
        .size:           8
        .value_kind:     global_buffer
      - .address_space:  global
        .offset:         16
        .size:           8
        .value_kind:     global_buffer
      - .address_space:  global
        .offset:         24
        .size:           8
        .value_kind:     global_buffer
    .group_segment_fixed_size: 0
    .kernarg_segment_align: 8
    .kernarg_segment_size: 32
    .language:       OpenCL C
    .language_version:
      - 2
      - 0
    .max_flat_workgroup_size: 1024
    .name:           _ZN9rocsparse29copy_farray_mix_safe_kernel_tI21rocsparse_complex_numIfE18rocsparse_bfloat16vE3runILj1024EEEvmPS2_PKS3_PS3_
    .private_segment_fixed_size: 0
    .sgpr_count:     0
    .sgpr_spill_count: 0
    .symbol:         _ZN9rocsparse29copy_farray_mix_safe_kernel_tI21rocsparse_complex_numIfE18rocsparse_bfloat16vE3runILj1024EEEvmPS2_PKS3_PS3_.kd
    .uniform_work_group_size: 1
    .uses_dynamic_stack: false
    .vgpr_count:     0
    .vgpr_spill_count: 0
    .wavefront_size: 32
    .workgroup_processor_mode: 1
  - .args:
      - .offset:         0
        .size:           8
        .value_kind:     by_value
      - .address_space:  global
        .offset:         8
        .size:           8
        .value_kind:     global_buffer
      - .address_space:  global
        .offset:         16
        .size:           8
        .value_kind:     global_buffer
      - .address_space:  global
        .offset:         24
        .size:           8
        .value_kind:     global_buffer
    .group_segment_fixed_size: 0
    .kernarg_segment_align: 8
    .kernarg_segment_size: 32
    .language:       OpenCL C
    .language_version:
      - 2
      - 0
    .max_flat_workgroup_size: 1024
    .name:           _ZN9rocsparse29copy_farray_mix_safe_kernel_tI21rocsparse_complex_numIfEfvE3runILj1024EEEvmPS2_PKfPf
    .private_segment_fixed_size: 0
    .sgpr_count:     18
    .sgpr_spill_count: 0
    .symbol:         _ZN9rocsparse29copy_farray_mix_safe_kernel_tI21rocsparse_complex_numIfEfvE3runILj1024EEEvmPS2_PKfPf.kd
    .uniform_work_group_size: 1
    .uses_dynamic_stack: false
    .vgpr_count:     6
    .vgpr_spill_count: 0
    .wavefront_size: 32
    .workgroup_processor_mode: 1
  - .args:
      - .offset:         0
        .size:           8
        .value_kind:     by_value
      - .address_space:  global
        .offset:         8
        .size:           8
        .value_kind:     global_buffer
      - .address_space:  global
        .offset:         16
        .size:           8
        .value_kind:     global_buffer
      - .address_space:  global
        .offset:         24
        .size:           8
        .value_kind:     global_buffer
    .group_segment_fixed_size: 8192
    .kernarg_segment_align: 8
    .kernarg_segment_size: 32
    .language:       OpenCL C
    .language_version:
      - 2
      - 0
    .max_flat_workgroup_size: 1024
    .name:           _ZN9rocsparse29copy_farray_mix_safe_kernel_tI21rocsparse_complex_numIfEdvE3runILj1024EEEvmPS2_PKdPd
    .private_segment_fixed_size: 0
    .sgpr_count:     18
    .sgpr_spill_count: 0
    .symbol:         _ZN9rocsparse29copy_farray_mix_safe_kernel_tI21rocsparse_complex_numIfEdvE3runILj1024EEEvmPS2_PKdPd.kd
    .uniform_work_group_size: 1
    .uses_dynamic_stack: false
    .vgpr_count:     10
    .vgpr_spill_count: 0
    .wavefront_size: 32
    .workgroup_processor_mode: 1
  - .args:
      - .offset:         0
        .size:           8
        .value_kind:     by_value
      - .address_space:  global
        .offset:         8
        .size:           8
        .value_kind:     global_buffer
      - .address_space:  global
        .offset:         16
        .size:           8
        .value_kind:     global_buffer
      - .address_space:  global
        .offset:         24
        .size:           8
        .value_kind:     global_buffer
    .group_segment_fixed_size: 0
    .kernarg_segment_align: 8
    .kernarg_segment_size: 32
    .language:       OpenCL C
    .language_version:
      - 2
      - 0
    .max_flat_workgroup_size: 1024
    .name:           _ZN9rocsparse29copy_farray_mix_safe_kernel_tI21rocsparse_complex_numIfES2_vE3runILj1024EEEvmPS2_PKS2_Pf
    .private_segment_fixed_size: 0
    .sgpr_count:     18
    .sgpr_spill_count: 0
    .symbol:         _ZN9rocsparse29copy_farray_mix_safe_kernel_tI21rocsparse_complex_numIfES2_vE3runILj1024EEEvmPS2_PKS2_Pf.kd
    .uniform_work_group_size: 1
    .uses_dynamic_stack: false
    .vgpr_count:     4
    .vgpr_spill_count: 0
    .wavefront_size: 32
    .workgroup_processor_mode: 1
  - .args:
      - .offset:         0
        .size:           8
        .value_kind:     by_value
      - .address_space:  global
        .offset:         8
        .size:           8
        .value_kind:     global_buffer
      - .address_space:  global
        .offset:         16
        .size:           8
        .value_kind:     global_buffer
      - .address_space:  global
        .offset:         24
        .size:           8
        .value_kind:     global_buffer
    .group_segment_fixed_size: 8192
    .kernarg_segment_align: 8
    .kernarg_segment_size: 32
    .language:       OpenCL C
    .language_version:
      - 2
      - 0
    .max_flat_workgroup_size: 1024
    .name:           _ZN9rocsparse29copy_farray_mix_safe_kernel_tI21rocsparse_complex_numIfES1_IdEvE3runILj1024EEEvmPS2_PKS3_Pd
    .private_segment_fixed_size: 0
    .sgpr_count:     18
    .sgpr_spill_count: 0
    .symbol:         _ZN9rocsparse29copy_farray_mix_safe_kernel_tI21rocsparse_complex_numIfES1_IdEvE3runILj1024EEEvmPS2_PKS3_Pd.kd
    .uniform_work_group_size: 1
    .uses_dynamic_stack: false
    .vgpr_count:     18
    .vgpr_spill_count: 0
    .wavefront_size: 32
    .workgroup_processor_mode: 1
  - .args:
      - .offset:         0
        .size:           8
        .value_kind:     by_value
      - .address_space:  global
        .offset:         8
        .size:           8
        .value_kind:     global_buffer
      - .address_space:  global
        .offset:         16
        .size:           8
        .value_kind:     global_buffer
      - .address_space:  global
        .offset:         24
        .size:           8
        .value_kind:     global_buffer
    .group_segment_fixed_size: 0
    .kernarg_segment_align: 8
    .kernarg_segment_size: 32
    .language:       OpenCL C
    .language_version:
      - 2
      - 0
    .max_flat_workgroup_size: 1024
    .name:           _ZN9rocsparse29copy_farray_mix_safe_kernel_tI21rocsparse_complex_numIdEavE3runILj1024EEEvmPS2_PKaPa
    .private_segment_fixed_size: 0
    .sgpr_count:     0
    .sgpr_spill_count: 0
    .symbol:         _ZN9rocsparse29copy_farray_mix_safe_kernel_tI21rocsparse_complex_numIdEavE3runILj1024EEEvmPS2_PKaPa.kd
    .uniform_work_group_size: 1
    .uses_dynamic_stack: false
    .vgpr_count:     0
    .vgpr_spill_count: 0
    .wavefront_size: 32
    .workgroup_processor_mode: 1
  - .args:
      - .offset:         0
        .size:           8
        .value_kind:     by_value
      - .address_space:  global
        .offset:         8
        .size:           8
        .value_kind:     global_buffer
      - .address_space:  global
        .offset:         16
        .size:           8
        .value_kind:     global_buffer
      - .address_space:  global
        .offset:         24
        .size:           8
        .value_kind:     global_buffer
    .group_segment_fixed_size: 0
    .kernarg_segment_align: 8
    .kernarg_segment_size: 32
    .language:       OpenCL C
    .language_version:
      - 2
      - 0
    .max_flat_workgroup_size: 1024
    .name:           _ZN9rocsparse29copy_farray_mix_safe_kernel_tI21rocsparse_complex_numIdEhvE3runILj1024EEEvmPS2_PKhPh
    .private_segment_fixed_size: 0
    .sgpr_count:     0
    .sgpr_spill_count: 0
    .symbol:         _ZN9rocsparse29copy_farray_mix_safe_kernel_tI21rocsparse_complex_numIdEhvE3runILj1024EEEvmPS2_PKhPh.kd
    .uniform_work_group_size: 1
    .uses_dynamic_stack: false
    .vgpr_count:     0
    .vgpr_spill_count: 0
    .wavefront_size: 32
    .workgroup_processor_mode: 1
  - .args:
      - .offset:         0
        .size:           8
        .value_kind:     by_value
      - .address_space:  global
        .offset:         8
        .size:           8
        .value_kind:     global_buffer
      - .address_space:  global
        .offset:         16
        .size:           8
        .value_kind:     global_buffer
      - .address_space:  global
        .offset:         24
        .size:           8
        .value_kind:     global_buffer
    .group_segment_fixed_size: 0
    .kernarg_segment_align: 8
    .kernarg_segment_size: 32
    .language:       OpenCL C
    .language_version:
      - 2
      - 0
    .max_flat_workgroup_size: 1024
    .name:           _ZN9rocsparse29copy_farray_mix_safe_kernel_tI21rocsparse_complex_numIdEivE3runILj1024EEEvmPS2_PKiPi
    .private_segment_fixed_size: 0
    .sgpr_count:     0
    .sgpr_spill_count: 0
    .symbol:         _ZN9rocsparse29copy_farray_mix_safe_kernel_tI21rocsparse_complex_numIdEivE3runILj1024EEEvmPS2_PKiPi.kd
    .uniform_work_group_size: 1
    .uses_dynamic_stack: false
    .vgpr_count:     0
    .vgpr_spill_count: 0
    .wavefront_size: 32
    .workgroup_processor_mode: 1
  - .args:
      - .offset:         0
        .size:           8
        .value_kind:     by_value
      - .address_space:  global
        .offset:         8
        .size:           8
        .value_kind:     global_buffer
      - .address_space:  global
        .offset:         16
        .size:           8
        .value_kind:     global_buffer
      - .address_space:  global
        .offset:         24
        .size:           8
        .value_kind:     global_buffer
    .group_segment_fixed_size: 0
    .kernarg_segment_align: 8
    .kernarg_segment_size: 32
    .language:       OpenCL C
    .language_version:
      - 2
      - 0
    .max_flat_workgroup_size: 1024
    .name:           _ZN9rocsparse29copy_farray_mix_safe_kernel_tI21rocsparse_complex_numIdEjvE3runILj1024EEEvmPS2_PKjPj
    .private_segment_fixed_size: 0
    .sgpr_count:     0
    .sgpr_spill_count: 0
    .symbol:         _ZN9rocsparse29copy_farray_mix_safe_kernel_tI21rocsparse_complex_numIdEjvE3runILj1024EEEvmPS2_PKjPj.kd
    .uniform_work_group_size: 1
    .uses_dynamic_stack: false
    .vgpr_count:     0
    .vgpr_spill_count: 0
    .wavefront_size: 32
    .workgroup_processor_mode: 1
  - .args:
      - .offset:         0
        .size:           8
        .value_kind:     by_value
      - .address_space:  global
        .offset:         8
        .size:           8
        .value_kind:     global_buffer
      - .address_space:  global
        .offset:         16
        .size:           8
        .value_kind:     global_buffer
      - .address_space:  global
        .offset:         24
        .size:           8
        .value_kind:     global_buffer
    .group_segment_fixed_size: 0
    .kernarg_segment_align: 8
    .kernarg_segment_size: 32
    .language:       OpenCL C
    .language_version:
      - 2
      - 0
    .max_flat_workgroup_size: 1024
    .name:           _ZN9rocsparse29copy_farray_mix_safe_kernel_tI21rocsparse_complex_numIdEDF16_vE3runILj1024EEEvmPS2_PKDF16_PDF16_
    .private_segment_fixed_size: 0
    .sgpr_count:     0
    .sgpr_spill_count: 0
    .symbol:         _ZN9rocsparse29copy_farray_mix_safe_kernel_tI21rocsparse_complex_numIdEDF16_vE3runILj1024EEEvmPS2_PKDF16_PDF16_.kd
    .uniform_work_group_size: 1
    .uses_dynamic_stack: false
    .vgpr_count:     0
    .vgpr_spill_count: 0
    .wavefront_size: 32
    .workgroup_processor_mode: 1
  - .args:
      - .offset:         0
        .size:           8
        .value_kind:     by_value
      - .address_space:  global
        .offset:         8
        .size:           8
        .value_kind:     global_buffer
      - .address_space:  global
        .offset:         16
        .size:           8
        .value_kind:     global_buffer
      - .address_space:  global
        .offset:         24
        .size:           8
        .value_kind:     global_buffer
    .group_segment_fixed_size: 0
    .kernarg_segment_align: 8
    .kernarg_segment_size: 32
    .language:       OpenCL C
    .language_version:
      - 2
      - 0
    .max_flat_workgroup_size: 1024
    .name:           _ZN9rocsparse29copy_farray_mix_safe_kernel_tI21rocsparse_complex_numIdE18rocsparse_bfloat16vE3runILj1024EEEvmPS2_PKS3_PS3_
    .private_segment_fixed_size: 0
    .sgpr_count:     0
    .sgpr_spill_count: 0
    .symbol:         _ZN9rocsparse29copy_farray_mix_safe_kernel_tI21rocsparse_complex_numIdE18rocsparse_bfloat16vE3runILj1024EEEvmPS2_PKS3_PS3_.kd
    .uniform_work_group_size: 1
    .uses_dynamic_stack: false
    .vgpr_count:     0
    .vgpr_spill_count: 0
    .wavefront_size: 32
    .workgroup_processor_mode: 1
  - .args:
      - .offset:         0
        .size:           8
        .value_kind:     by_value
      - .address_space:  global
        .offset:         8
        .size:           8
        .value_kind:     global_buffer
      - .address_space:  global
        .offset:         16
        .size:           8
        .value_kind:     global_buffer
      - .address_space:  global
        .offset:         24
        .size:           8
        .value_kind:     global_buffer
    .group_segment_fixed_size: 0
    .kernarg_segment_align: 8
    .kernarg_segment_size: 32
    .language:       OpenCL C
    .language_version:
      - 2
      - 0
    .max_flat_workgroup_size: 1024
    .name:           _ZN9rocsparse29copy_farray_mix_safe_kernel_tI21rocsparse_complex_numIdEfvE3runILj1024EEEvmPS2_PKfPf
    .private_segment_fixed_size: 0
    .sgpr_count:     0
    .sgpr_spill_count: 0
    .symbol:         _ZN9rocsparse29copy_farray_mix_safe_kernel_tI21rocsparse_complex_numIdEfvE3runILj1024EEEvmPS2_PKfPf.kd
    .uniform_work_group_size: 1
    .uses_dynamic_stack: false
    .vgpr_count:     0
    .vgpr_spill_count: 0
    .wavefront_size: 32
    .workgroup_processor_mode: 1
  - .args:
      - .offset:         0
        .size:           8
        .value_kind:     by_value
      - .address_space:  global
        .offset:         8
        .size:           8
        .value_kind:     global_buffer
      - .address_space:  global
        .offset:         16
        .size:           8
        .value_kind:     global_buffer
      - .address_space:  global
        .offset:         24
        .size:           8
        .value_kind:     global_buffer
    .group_segment_fixed_size: 0
    .kernarg_segment_align: 8
    .kernarg_segment_size: 32
    .language:       OpenCL C
    .language_version:
      - 2
      - 0
    .max_flat_workgroup_size: 1024
    .name:           _ZN9rocsparse29copy_farray_mix_safe_kernel_tI21rocsparse_complex_numIdEdvE3runILj1024EEEvmPS2_PKdPd
    .private_segment_fixed_size: 0
    .sgpr_count:     0
    .sgpr_spill_count: 0
    .symbol:         _ZN9rocsparse29copy_farray_mix_safe_kernel_tI21rocsparse_complex_numIdEdvE3runILj1024EEEvmPS2_PKdPd.kd
    .uniform_work_group_size: 1
    .uses_dynamic_stack: false
    .vgpr_count:     0
    .vgpr_spill_count: 0
    .wavefront_size: 32
    .workgroup_processor_mode: 1
  - .args:
      - .offset:         0
        .size:           8
        .value_kind:     by_value
      - .address_space:  global
        .offset:         8
        .size:           8
        .value_kind:     global_buffer
      - .address_space:  global
        .offset:         16
        .size:           8
        .value_kind:     global_buffer
      - .address_space:  global
        .offset:         24
        .size:           8
        .value_kind:     global_buffer
    .group_segment_fixed_size: 0
    .kernarg_segment_align: 8
    .kernarg_segment_size: 32
    .language:       OpenCL C
    .language_version:
      - 2
      - 0
    .max_flat_workgroup_size: 1024
    .name:           _ZN9rocsparse29copy_farray_mix_safe_kernel_tI21rocsparse_complex_numIdES1_IfEvE3runILj1024EEEvmPS2_PKS3_Pf
    .private_segment_fixed_size: 0
    .sgpr_count:     18
    .sgpr_spill_count: 0
    .symbol:         _ZN9rocsparse29copy_farray_mix_safe_kernel_tI21rocsparse_complex_numIdES1_IfEvE3runILj1024EEEvmPS2_PKS3_Pf.kd
    .uniform_work_group_size: 1
    .uses_dynamic_stack: false
    .vgpr_count:     6
    .vgpr_spill_count: 0
    .wavefront_size: 32
    .workgroup_processor_mode: 1
  - .args:
      - .offset:         0
        .size:           8
        .value_kind:     by_value
      - .address_space:  global
        .offset:         8
        .size:           8
        .value_kind:     global_buffer
      - .address_space:  global
        .offset:         16
        .size:           8
        .value_kind:     global_buffer
      - .address_space:  global
        .offset:         24
        .size:           8
        .value_kind:     global_buffer
    .group_segment_fixed_size: 0
    .kernarg_segment_align: 8
    .kernarg_segment_size: 32
    .language:       OpenCL C
    .language_version:
      - 2
      - 0
    .max_flat_workgroup_size: 1024
    .name:           _ZN9rocsparse29copy_farray_mix_safe_kernel_tI21rocsparse_complex_numIdES2_vE3runILj1024EEEvmPS2_PKS2_Pd
    .private_segment_fixed_size: 0
    .sgpr_count:     18
    .sgpr_spill_count: 0
    .symbol:         _ZN9rocsparse29copy_farray_mix_safe_kernel_tI21rocsparse_complex_numIdES2_vE3runILj1024EEEvmPS2_PKS2_Pd.kd
    .uniform_work_group_size: 1
    .uses_dynamic_stack: false
    .vgpr_count:     6
    .vgpr_spill_count: 0
    .wavefront_size: 32
    .workgroup_processor_mode: 1
amdhsa.target:   amdgcn-amd-amdhsa--gfx1100
amdhsa.version:
  - 1
  - 2
...

	.end_amdgpu_metadata
